;; amdgpu-corpus repo=ROCm/rocFFT kind=compiled arch=gfx906 opt=O3
	.text
	.amdgcn_target "amdgcn-amd-amdhsa--gfx906"
	.amdhsa_code_object_version 6
	.protected	fft_rtc_back_len2000_factors_5_5_5_16_wgs_125_tpt_125_halfLds_dp_ip_CI_unitstride_sbrr_dirReg ; -- Begin function fft_rtc_back_len2000_factors_5_5_5_16_wgs_125_tpt_125_halfLds_dp_ip_CI_unitstride_sbrr_dirReg
	.globl	fft_rtc_back_len2000_factors_5_5_5_16_wgs_125_tpt_125_halfLds_dp_ip_CI_unitstride_sbrr_dirReg
	.p2align	8
	.type	fft_rtc_back_len2000_factors_5_5_5_16_wgs_125_tpt_125_halfLds_dp_ip_CI_unitstride_sbrr_dirReg,@function
fft_rtc_back_len2000_factors_5_5_5_16_wgs_125_tpt_125_halfLds_dp_ip_CI_unitstride_sbrr_dirReg: ; @fft_rtc_back_len2000_factors_5_5_5_16_wgs_125_tpt_125_halfLds_dp_ip_CI_unitstride_sbrr_dirReg
; %bb.0:
	s_load_dwordx2 s[2:3], s[4:5], 0x50
	s_load_dwordx4 s[8:11], s[4:5], 0x0
	s_load_dwordx2 s[12:13], s[4:5], 0x18
	v_mul_u32_u24_e32 v1, 0x20d, v0
	v_add_u32_sdwa v5, s6, v1 dst_sel:DWORD dst_unused:UNUSED_PAD src0_sel:DWORD src1_sel:WORD_1
	v_mov_b32_e32 v3, 0
	s_waitcnt lgkmcnt(0)
	v_cmp_lt_u64_e64 s[0:1], s[10:11], 2
	v_mov_b32_e32 v1, 0
	v_mov_b32_e32 v6, v3
	s_and_b64 vcc, exec, s[0:1]
	v_mov_b32_e32 v2, 0
	s_cbranch_vccnz .LBB0_8
; %bb.1:
	s_load_dwordx2 s[0:1], s[4:5], 0x10
	s_add_u32 s6, s12, 8
	s_addc_u32 s7, s13, 0
	v_mov_b32_e32 v1, 0
	v_mov_b32_e32 v2, 0
	s_waitcnt lgkmcnt(0)
	s_add_u32 s14, s0, 8
	s_addc_u32 s15, s1, 0
	s_mov_b64 s[16:17], 1
.LBB0_2:                                ; =>This Inner Loop Header: Depth=1
	s_load_dwordx2 s[18:19], s[14:15], 0x0
                                        ; implicit-def: $vgpr7_vgpr8
	s_waitcnt lgkmcnt(0)
	v_or_b32_e32 v4, s19, v6
	v_cmp_ne_u64_e32 vcc, 0, v[3:4]
	s_and_saveexec_b64 s[0:1], vcc
	s_xor_b64 s[20:21], exec, s[0:1]
	s_cbranch_execz .LBB0_4
; %bb.3:                                ;   in Loop: Header=BB0_2 Depth=1
	v_cvt_f32_u32_e32 v4, s18
	v_cvt_f32_u32_e32 v7, s19
	s_sub_u32 s0, 0, s18
	s_subb_u32 s1, 0, s19
	v_mac_f32_e32 v4, 0x4f800000, v7
	v_rcp_f32_e32 v4, v4
	v_mul_f32_e32 v4, 0x5f7ffffc, v4
	v_mul_f32_e32 v7, 0x2f800000, v4
	v_trunc_f32_e32 v7, v7
	v_mac_f32_e32 v4, 0xcf800000, v7
	v_cvt_u32_f32_e32 v7, v7
	v_cvt_u32_f32_e32 v4, v4
	v_mul_lo_u32 v8, s0, v7
	v_mul_hi_u32 v9, s0, v4
	v_mul_lo_u32 v11, s1, v4
	v_mul_lo_u32 v10, s0, v4
	v_add_u32_e32 v8, v9, v8
	v_add_u32_e32 v8, v8, v11
	v_mul_hi_u32 v9, v4, v10
	v_mul_lo_u32 v11, v4, v8
	v_mul_hi_u32 v13, v4, v8
	v_mul_hi_u32 v12, v7, v10
	v_mul_lo_u32 v10, v7, v10
	v_mul_hi_u32 v14, v7, v8
	v_add_co_u32_e32 v9, vcc, v9, v11
	v_addc_co_u32_e32 v11, vcc, 0, v13, vcc
	v_mul_lo_u32 v8, v7, v8
	v_add_co_u32_e32 v9, vcc, v9, v10
	v_addc_co_u32_e32 v9, vcc, v11, v12, vcc
	v_addc_co_u32_e32 v10, vcc, 0, v14, vcc
	v_add_co_u32_e32 v8, vcc, v9, v8
	v_addc_co_u32_e32 v9, vcc, 0, v10, vcc
	v_add_co_u32_e32 v4, vcc, v4, v8
	v_addc_co_u32_e32 v7, vcc, v7, v9, vcc
	v_mul_lo_u32 v8, s0, v7
	v_mul_hi_u32 v9, s0, v4
	v_mul_lo_u32 v10, s1, v4
	v_mul_lo_u32 v11, s0, v4
	v_add_u32_e32 v8, v9, v8
	v_add_u32_e32 v8, v8, v10
	v_mul_lo_u32 v12, v4, v8
	v_mul_hi_u32 v13, v4, v11
	v_mul_hi_u32 v14, v4, v8
	;; [unrolled: 1-line block ×3, first 2 shown]
	v_mul_lo_u32 v11, v7, v11
	v_mul_hi_u32 v9, v7, v8
	v_add_co_u32_e32 v12, vcc, v13, v12
	v_addc_co_u32_e32 v13, vcc, 0, v14, vcc
	v_mul_lo_u32 v8, v7, v8
	v_add_co_u32_e32 v11, vcc, v12, v11
	v_addc_co_u32_e32 v10, vcc, v13, v10, vcc
	v_addc_co_u32_e32 v9, vcc, 0, v9, vcc
	v_add_co_u32_e32 v8, vcc, v10, v8
	v_addc_co_u32_e32 v9, vcc, 0, v9, vcc
	v_add_co_u32_e32 v4, vcc, v4, v8
	v_addc_co_u32_e32 v9, vcc, v7, v9, vcc
	v_mad_u64_u32 v[7:8], s[0:1], v5, v9, 0
	v_mul_hi_u32 v10, v5, v4
	v_add_co_u32_e32 v11, vcc, v10, v7
	v_addc_co_u32_e32 v12, vcc, 0, v8, vcc
	v_mad_u64_u32 v[7:8], s[0:1], v6, v4, 0
	v_mad_u64_u32 v[9:10], s[0:1], v6, v9, 0
	v_add_co_u32_e32 v4, vcc, v11, v7
	v_addc_co_u32_e32 v4, vcc, v12, v8, vcc
	v_addc_co_u32_e32 v7, vcc, 0, v10, vcc
	v_add_co_u32_e32 v4, vcc, v4, v9
	v_addc_co_u32_e32 v9, vcc, 0, v7, vcc
	v_mul_lo_u32 v10, s19, v4
	v_mul_lo_u32 v11, s18, v9
	v_mad_u64_u32 v[7:8], s[0:1], s18, v4, 0
	v_add3_u32 v8, v8, v11, v10
	v_sub_u32_e32 v10, v6, v8
	v_mov_b32_e32 v11, s19
	v_sub_co_u32_e32 v7, vcc, v5, v7
	v_subb_co_u32_e64 v10, s[0:1], v10, v11, vcc
	v_subrev_co_u32_e64 v11, s[0:1], s18, v7
	v_subbrev_co_u32_e64 v10, s[0:1], 0, v10, s[0:1]
	v_cmp_le_u32_e64 s[0:1], s19, v10
	v_cndmask_b32_e64 v12, 0, -1, s[0:1]
	v_cmp_le_u32_e64 s[0:1], s18, v11
	v_cndmask_b32_e64 v11, 0, -1, s[0:1]
	v_cmp_eq_u32_e64 s[0:1], s19, v10
	v_cndmask_b32_e64 v10, v12, v11, s[0:1]
	v_add_co_u32_e64 v11, s[0:1], 2, v4
	v_addc_co_u32_e64 v12, s[0:1], 0, v9, s[0:1]
	v_add_co_u32_e64 v13, s[0:1], 1, v4
	v_addc_co_u32_e64 v14, s[0:1], 0, v9, s[0:1]
	v_subb_co_u32_e32 v8, vcc, v6, v8, vcc
	v_cmp_ne_u32_e64 s[0:1], 0, v10
	v_cmp_le_u32_e32 vcc, s19, v8
	v_cndmask_b32_e64 v10, v14, v12, s[0:1]
	v_cndmask_b32_e64 v12, 0, -1, vcc
	v_cmp_le_u32_e32 vcc, s18, v7
	v_cndmask_b32_e64 v7, 0, -1, vcc
	v_cmp_eq_u32_e32 vcc, s19, v8
	v_cndmask_b32_e32 v7, v12, v7, vcc
	v_cmp_ne_u32_e32 vcc, 0, v7
	v_cndmask_b32_e64 v7, v13, v11, s[0:1]
	v_cndmask_b32_e32 v8, v9, v10, vcc
	v_cndmask_b32_e32 v7, v4, v7, vcc
.LBB0_4:                                ;   in Loop: Header=BB0_2 Depth=1
	s_andn2_saveexec_b64 s[0:1], s[20:21]
	s_cbranch_execz .LBB0_6
; %bb.5:                                ;   in Loop: Header=BB0_2 Depth=1
	v_cvt_f32_u32_e32 v4, s18
	s_sub_i32 s20, 0, s18
	v_rcp_iflag_f32_e32 v4, v4
	v_mul_f32_e32 v4, 0x4f7ffffe, v4
	v_cvt_u32_f32_e32 v4, v4
	v_mul_lo_u32 v7, s20, v4
	v_mul_hi_u32 v7, v4, v7
	v_add_u32_e32 v4, v4, v7
	v_mul_hi_u32 v4, v5, v4
	v_mul_lo_u32 v7, v4, s18
	v_add_u32_e32 v8, 1, v4
	v_sub_u32_e32 v7, v5, v7
	v_subrev_u32_e32 v9, s18, v7
	v_cmp_le_u32_e32 vcc, s18, v7
	v_cndmask_b32_e32 v7, v7, v9, vcc
	v_cndmask_b32_e32 v4, v4, v8, vcc
	v_add_u32_e32 v8, 1, v4
	v_cmp_le_u32_e32 vcc, s18, v7
	v_cndmask_b32_e32 v7, v4, v8, vcc
	v_mov_b32_e32 v8, v3
.LBB0_6:                                ;   in Loop: Header=BB0_2 Depth=1
	s_or_b64 exec, exec, s[0:1]
	v_mul_lo_u32 v4, v8, s18
	v_mul_lo_u32 v11, v7, s19
	v_mad_u64_u32 v[9:10], s[0:1], v7, s18, 0
	s_load_dwordx2 s[0:1], s[6:7], 0x0
	s_add_u32 s16, s16, 1
	v_add3_u32 v4, v10, v11, v4
	v_sub_co_u32_e32 v5, vcc, v5, v9
	v_subb_co_u32_e32 v4, vcc, v6, v4, vcc
	s_waitcnt lgkmcnt(0)
	v_mul_lo_u32 v4, s0, v4
	v_mul_lo_u32 v6, s1, v5
	v_mad_u64_u32 v[1:2], s[0:1], s0, v5, v[1:2]
	s_addc_u32 s17, s17, 0
	s_add_u32 s6, s6, 8
	v_add3_u32 v2, v6, v2, v4
	v_mov_b32_e32 v4, s10
	v_mov_b32_e32 v5, s11
	s_addc_u32 s7, s7, 0
	v_cmp_ge_u64_e32 vcc, s[16:17], v[4:5]
	s_add_u32 s14, s14, 8
	s_addc_u32 s15, s15, 0
	s_cbranch_vccnz .LBB0_9
; %bb.7:                                ;   in Loop: Header=BB0_2 Depth=1
	v_mov_b32_e32 v5, v7
	v_mov_b32_e32 v6, v8
	s_branch .LBB0_2
.LBB0_8:
	v_mov_b32_e32 v8, v6
	v_mov_b32_e32 v7, v5
.LBB0_9:
	s_lshl_b64 s[0:1], s[10:11], 3
	s_add_u32 s0, s12, s0
	s_addc_u32 s1, s13, s1
	s_load_dwordx2 s[6:7], s[0:1], 0x0
	s_load_dwordx2 s[10:11], s[4:5], 0x20
	v_mov_b32_e32 v110, 0
                                        ; implicit-def: $vgpr102_vgpr103
                                        ; implicit-def: $vgpr86_vgpr87
                                        ; implicit-def: $vgpr98_vgpr99
                                        ; implicit-def: $vgpr94_vgpr95
                                        ; implicit-def: $vgpr90_vgpr91
                                        ; implicit-def: $vgpr66_vgpr67
                                        ; implicit-def: $vgpr82_vgpr83
                                        ; implicit-def: $vgpr54_vgpr55
                                        ; implicit-def: $vgpr10_vgpr11
                                        ; implicit-def: $vgpr42_vgpr43
                                        ; implicit-def: $vgpr46_vgpr47
                                        ; implicit-def: $vgpr58_vgpr59
                                        ; implicit-def: $vgpr70_vgpr71
                                        ; implicit-def: $vgpr62_vgpr63
                                        ; implicit-def: $vgpr50_vgpr51
                                        ; implicit-def: $vgpr14_vgpr15
                                        ; implicit-def: $vgpr18_vgpr19
                                        ; implicit-def: $vgpr74_vgpr75
                                        ; implicit-def: $vgpr78_vgpr79
                                        ; implicit-def: $vgpr106_vgpr107
	s_waitcnt lgkmcnt(0)
	v_mad_u64_u32 v[1:2], s[0:1], s6, v7, v[1:2]
	v_mul_lo_u32 v3, s6, v8
	v_mul_lo_u32 v4, s7, v7
	s_mov_b32 s0, 0x20c49bb
	v_mul_hi_u32 v5, v0, s0
	v_cmp_gt_u64_e64 s[0:1], s[10:11], v[7:8]
	v_add3_u32 v2, v4, v2, v3
	v_lshlrev_b64 v[108:109], 4, v[1:2]
	v_mul_u32_u24_e32 v3, 0x7d, v5
	v_sub_u32_e32 v111, v0, v3
	s_and_saveexec_b64 s[4:5], s[0:1]
	s_cbranch_execz .LBB0_13
; %bb.10:
	v_mov_b32_e32 v112, 0
	v_mov_b32_e32 v0, s3
	v_add_co_u32_e32 v2, vcc, s2, v108
	v_addc_co_u32_e32 v3, vcc, v0, v109, vcc
	v_lshlrev_b64 v[0:1], 4, v[111:112]
                                        ; implicit-def: $vgpr16_vgpr17
                                        ; implicit-def: $vgpr48_vgpr49
                                        ; implicit-def: $vgpr60_vgpr61
                                        ; implicit-def: $vgpr68_vgpr69
	v_add_co_u32_e32 v0, vcc, v2, v0
	v_addc_co_u32_e32 v1, vcc, v3, v1, vcc
	v_add_co_u32_e32 v2, vcc, 0x1000, v0
	v_addc_co_u32_e32 v3, vcc, 0, v1, vcc
	;; [unrolled: 2-line block ×6, first 2 shown]
	global_load_dwordx4 v[84:87], v[4:5], off offset:512
	global_load_dwordx4 v[64:67], v[4:5], off offset:2512
	v_add_co_u32_e32 v4, vcc, 0x5000, v0
	v_addc_co_u32_e32 v5, vcc, 0, v1, vcc
	global_load_dwordx4 v[92:95], v[12:13], off offset:1024
	global_load_dwordx4 v[72:75], v[12:13], off offset:3024
	;; [unrolled: 1-line block ×4, first 2 shown]
	v_add_co_u32_e32 v12, vcc, 0x7000, v0
	v_addc_co_u32_e32 v13, vcc, 0, v1, vcc
	global_load_dwordx4 v[96:99], v[6:7], off offset:2816
	global_load_dwordx4 v[40:43], v[6:7], off offset:416
	;; [unrolled: 1-line block ×5, first 2 shown]
	global_load_dwordx4 v[104:107], v[0:1], off
	global_load_dwordx4 v[88:91], v[0:1], off offset:2000
	global_load_dwordx4 v[100:103], v[2:3], off offset:2304
	;; [unrolled: 1-line block ×3, first 2 shown]
	v_cmp_gt_u32_e32 vcc, 25, v111
                                        ; implicit-def: $vgpr12_vgpr13
	s_and_saveexec_b64 s[6:7], vcc
	s_cbranch_execz .LBB0_12
; %bb.11:
	v_add_co_u32_e32 v2, vcc, 0x1000, v0
	v_addc_co_u32_e32 v3, vcc, 0, v1, vcc
	v_add_co_u32_e32 v4, vcc, 0x3000, v0
	v_addc_co_u32_e32 v5, vcc, 0, v1, vcc
	global_load_dwordx4 v[16:19], v[2:3], off offset:1904
	global_load_dwordx4 v[12:15], v[4:5], off offset:112
	v_add_co_u32_e32 v2, vcc, 0x4000, v0
	v_addc_co_u32_e32 v3, vcc, 0, v1, vcc
	v_add_co_u32_e32 v4, vcc, 0x6000, v0
	v_addc_co_u32_e32 v5, vcc, 0, v1, vcc
	;; [unrolled: 2-line block ×3, first 2 shown]
	global_load_dwordx4 v[48:51], v[2:3], off offset:2416
	global_load_dwordx4 v[60:63], v[4:5], off offset:624
	;; [unrolled: 1-line block ×3, first 2 shown]
.LBB0_12:
	s_or_b64 exec, exec, s[6:7]
	v_mov_b32_e32 v110, v111
.LBB0_13:
	s_or_b64 exec, exec, s[4:5]
	s_waitcnt vmcnt(8)
	v_add_f64 v[0:1], v[84:85], v[96:97]
	s_waitcnt vmcnt(1)
	v_add_f64 v[2:3], v[102:103], -v[94:95]
	v_add_f64 v[22:23], v[100:101], v[92:93]
	s_mov_b32 s4, 0x134454ff
	s_mov_b32 s5, 0xbfee6f0e
	v_add_f64 v[4:5], v[86:87], -v[98:99]
	v_add_f64 v[6:7], v[100:101], -v[84:85]
	;; [unrolled: 1-line block ×3, first 2 shown]
	v_fma_f64 v[0:1], v[0:1], -0.5, v[104:105]
	v_add_f64 v[24:25], v[64:65], v[80:81]
	v_fma_f64 v[22:23], v[22:23], -0.5, v[104:105]
	s_mov_b32 s6, 0x4755a5e
	s_mov_b32 s7, 0xbfe2cf23
	;; [unrolled: 1-line block ×4, first 2 shown]
	v_add_f64 v[28:29], v[84:85], -v[100:101]
	v_fma_f64 v[26:27], v[2:3], s[4:5], v[0:1]
	v_add_f64 v[30:31], v[78:79], -v[74:75]
	v_add_f64 v[6:7], v[6:7], v[20:21]
	v_fma_f64 v[20:21], v[24:25], -0.5, v[88:89]
	v_fma_f64 v[0:1], v[2:3], s[12:13], v[0:1]
	v_fma_f64 v[34:35], v[4:5], s[12:13], v[22:23]
	;; [unrolled: 1-line block ×3, first 2 shown]
	s_mov_b32 s10, 0x372fe950
	v_fma_f64 v[24:25], v[4:5], s[6:7], v[26:27]
	v_add_f64 v[26:27], v[96:97], -v[92:93]
	s_mov_b32 s11, 0x3fd3c6ef
	s_mov_b32 s15, 0x3fe2cf23
	;; [unrolled: 1-line block ×3, first 2 shown]
	v_add_f64 v[32:33], v[66:67], -v[82:83]
	v_fma_f64 v[36:37], v[30:31], s[4:5], v[20:21]
	v_fma_f64 v[0:1], v[4:5], s[14:15], v[0:1]
	;; [unrolled: 1-line block ×3, first 2 shown]
	v_add_f64 v[24:25], v[76:77], -v[64:65]
	v_add_f64 v[38:39], v[72:73], -v[80:81]
	v_fma_f64 v[20:21], v[30:31], s[12:13], v[20:21]
	v_add_f64 v[112:113], v[72:73], v[76:77]
	v_fma_f64 v[34:35], v[2:3], s[6:7], v[34:35]
	v_add_f64 v[26:27], v[28:29], v[26:27]
	;; [unrolled: 2-line block ×4, first 2 shown]
	v_fma_f64 v[20:21], v[32:33], s[14:15], v[20:21]
	v_fma_f64 v[36:37], v[112:113], -0.5, v[88:89]
	v_fma_f64 v[0:1], v[6:7], s[10:11], v[0:1]
	v_fma_f64 v[6:7], v[26:27], s[10:11], v[34:35]
	;; [unrolled: 1-line block ×3, first 2 shown]
	s_waitcnt vmcnt(0)
	v_fma_f64 v[22:23], v[22:23], -0.5, v[52:53]
	v_add_f64 v[26:27], v[10:11], -v[58:59]
	v_fma_f64 v[28:29], v[24:25], s[10:11], v[28:29]
	v_fma_f64 v[20:21], v[24:25], s[10:11], v[20:21]
	;; [unrolled: 1-line block ×3, first 2 shown]
	v_add_f64 v[38:39], v[8:9], v[56:57]
	v_fma_f64 v[32:33], v[32:33], s[4:5], v[36:37]
	v_add_f64 v[114:115], v[42:43], -v[46:47]
	v_add_f64 v[116:117], v[8:9], -v[40:41]
	v_fma_f64 v[36:37], v[26:27], s[4:5], v[22:23]
	v_add_f64 v[118:119], v[56:57], -v[44:45]
	v_fma_f64 v[22:23], v[26:27], s[12:13], v[22:23]
	v_add_f64 v[34:35], v[64:65], -v[76:77]
	v_add_f64 v[112:113], v[80:81], -v[72:73]
	v_fma_f64 v[38:39], v[38:39], -0.5, v[52:53]
	v_fma_f64 v[24:25], v[30:31], s[6:7], v[24:25]
	v_fma_f64 v[30:31], v[30:31], s[14:15], v[32:33]
	;; [unrolled: 1-line block ×3, first 2 shown]
	v_add_f64 v[36:37], v[116:117], v[118:119]
	v_fma_f64 v[22:23], v[114:115], s[14:15], v[22:23]
	v_add_f64 v[118:119], v[40:41], -v[8:9]
	v_add_f64 v[34:35], v[112:113], v[34:35]
	v_add_f64 v[112:113], v[60:61], v[48:49]
	v_fma_f64 v[116:117], v[114:115], s[12:13], v[38:39]
	v_add_f64 v[120:121], v[44:45], -v[56:57]
	v_add_f64 v[122:123], v[14:15], -v[70:71]
	v_fma_f64 v[32:33], v[36:37], s[10:11], v[32:33]
	v_fma_f64 v[22:23], v[36:37], s[10:11], v[22:23]
	;; [unrolled: 1-line block ×3, first 2 shown]
	v_add_f64 v[38:39], v[68:69], v[12:13]
	v_fma_f64 v[112:113], v[112:113], -0.5, v[16:17]
	v_fma_f64 v[24:25], v[34:35], s[10:11], v[24:25]
	v_fma_f64 v[30:31], v[34:35], s[10:11], v[30:31]
	;; [unrolled: 1-line block ×3, first 2 shown]
	v_add_f64 v[88:89], v[88:89], v[76:77]
	v_add_f64 v[52:53], v[52:53], v[8:9]
	v_fma_f64 v[26:27], v[26:27], s[14:15], v[36:37]
	v_fma_f64 v[36:37], v[38:39], -0.5, v[16:17]
	v_add_f64 v[38:39], v[100:101], v[104:105]
	v_add_f64 v[114:115], v[118:119], v[120:121]
	v_fma_f64 v[116:117], v[122:123], s[4:5], v[112:113]
	v_add_f64 v[118:119], v[50:51], -v[62:63]
	v_add_f64 v[120:121], v[12:13], -v[48:49]
	v_add_f64 v[124:125], v[68:69], -v[60:61]
	v_fma_f64 v[112:113], v[122:123], s[12:13], v[112:113]
	v_add_f64 v[16:17], v[12:13], v[16:17]
	v_add_f64 v[38:39], v[84:85], v[38:39]
	;; [unrolled: 1-line block ×4, first 2 shown]
	v_fma_f64 v[104:105], v[118:119], s[6:7], v[116:117]
	v_fma_f64 v[126:127], v[118:119], s[12:13], v[36:37]
	v_add_f64 v[116:117], v[124:125], v[120:121]
	v_fma_f64 v[120:121], v[118:119], s[14:15], v[112:113]
	v_add_f64 v[112:113], v[48:49], -v[12:13]
	v_add_f64 v[124:125], v[60:61], -v[68:69]
	v_add_f64 v[16:17], v[48:49], v[16:17]
	v_fma_f64 v[36:37], v[118:119], s[4:5], v[36:37]
	v_add_f64 v[38:39], v[96:97], v[38:39]
	v_add_f64 v[88:89], v[80:81], v[88:89]
	;; [unrolled: 1-line block ×3, first 2 shown]
	v_fma_f64 v[34:35], v[114:115], s[10:11], v[34:35]
	v_fma_f64 v[26:27], v[114:115], s[10:11], v[26:27]
	v_add_f64 v[114:115], v[124:125], v[112:113]
	v_add_f64 v[16:17], v[60:61], v[16:17]
	v_fma_f64 v[118:119], v[122:123], s[6:7], v[126:127]
	v_fma_f64 v[36:37], v[122:123], s[14:15], v[36:37]
	v_add_f64 v[38:39], v[92:93], v[38:39]
	v_fma_f64 v[112:113], v[116:117], s[10:11], v[104:105]
	v_fma_f64 v[104:105], v[116:117], s[10:11], v[120:121]
	v_add_f64 v[120:121], v[72:73], v[88:89]
	v_add_f64 v[52:53], v[52:53], v[56:57]
	;; [unrolled: 1-line block ×3, first 2 shown]
	v_fma_f64 v[116:117], v[114:115], s[10:11], v[118:119]
	v_fma_f64 v[114:115], v[114:115], s[10:11], v[36:37]
	v_mad_u32_u24 v16, v111, 40, 0
	ds_write2_b64 v16, v[38:39], v[4:5] offset1:1
	ds_write2_b64 v16, v[6:7], v[2:3] offset0:2 offset1:3
	ds_write_b64 v16, v[0:1] offset:32
	v_add_u32_e32 v0, 0x1388, v16
	ds_write2_b64 v0, v[120:121], v[28:29] offset1:1
	v_add_u32_e32 v0, 0x1398, v16
	ds_write2_b64 v0, v[24:25], v[30:31] offset1:1
	ds_write_b64 v16, v[20:21] offset:5032
	v_add_u32_e32 v0, 0x2710, v16
	ds_write2_b64 v0, v[52:53], v[32:33] offset1:1
	v_add_u32_e32 v0, 0x2720, v16
	v_cmp_gt_u32_e32 vcc, 25, v111
	ds_write2_b64 v0, v[34:35], v[26:27] offset1:1
	ds_write_b64 v16, v[22:23] offset:10032
	s_and_saveexec_b64 s[4:5], vcc
	s_cbranch_execz .LBB0_15
; %bb.14:
	v_add_u32_e32 v0, 0x3a98, v16
	ds_write2_b64 v0, v[88:89], v[112:113] offset1:1
	v_add_u32_e32 v0, 0x3aa8, v16
	ds_write2_b64 v0, v[116:117], v[114:115] offset1:1
	ds_write_b64 v16, v[104:105] offset:15032
.LBB0_15:
	s_or_b64 exec, exec, s[4:5]
	v_lshlrev_b32_e32 v0, 5, v111
	v_sub_u32_e32 v128, v16, v0
	v_add_u32_e32 v17, 0x1800, v128
	s_waitcnt lgkmcnt(0)
	s_barrier
	ds_read2_b64 v[32:35], v17 offset0:32 offset1:157
	v_add_u32_e32 v17, 0x2000, v128
	ds_read2_b64 v[20:23], v17 offset0:26 offset1:176
	v_add_u32_e32 v17, 0x3000, v128
	;; [unrolled: 2-line block ×3, first 2 shown]
	v_add_u32_e32 v0, 0x600, v128
	ds_read2_b64 v[28:31], v17 offset0:13 offset1:138
	v_add_u32_e32 v17, 0x2800, v128
	ds_read2_b64 v[4:7], v128 offset1:125
	ds_read2_b64 v[0:3], v0 offset0:58 offset1:208
	ds_read2_b64 v[24:27], v17 offset0:45 offset1:170
	ds_read_b64 v[118:119], v128 offset:14800
	s_and_saveexec_b64 s[4:5], vcc
	s_cbranch_execz .LBB0_17
; %bb.16:
	ds_read_b64 v[88:89], v128 offset:3000
	ds_read_b64 v[112:113], v128 offset:6200
	;; [unrolled: 1-line block ×5, first 2 shown]
.LBB0_17:
	s_or_b64 exec, exec, s[4:5]
	v_add_f64 v[120:121], v[86:87], v[98:99]
	v_add_f64 v[92:93], v[100:101], -v[92:93]
	s_mov_b32 s4, 0x134454ff
	s_mov_b32 s5, 0x3fee6f0e
	v_add_f64 v[84:85], v[84:85], -v[96:97]
	s_mov_b32 s12, 0x4755a5e
	s_mov_b32 s13, 0x3fe2cf23
	s_mov_b32 s15, 0xbfee6f0e
	v_fma_f64 v[120:121], v[120:121], -0.5, v[106:107]
	s_mov_b32 s14, s4
	v_add_f64 v[122:123], v[94:95], -v[98:99]
	s_mov_b32 s11, 0xbfe2cf23
	s_mov_b32 s10, s12
	;; [unrolled: 1-line block ×4, first 2 shown]
	v_add_f64 v[52:53], v[102:103], v[106:107]
	v_fma_f64 v[100:101], v[92:93], s[4:5], v[120:121]
	v_fma_f64 v[120:121], v[92:93], s[14:15], v[120:121]
	v_add_f64 v[72:73], v[76:77], -v[72:73]
	v_add_f64 v[64:65], v[64:65], -v[80:81]
	;; [unrolled: 1-line block ×5, first 2 shown]
	v_add_f64 v[52:53], v[86:87], v[52:53]
	v_fma_f64 v[96:97], v[84:85], s[12:13], v[100:101]
	v_add_f64 v[100:101], v[102:103], -v[86:87]
	v_fma_f64 v[120:121], v[84:85], s[10:11], v[120:121]
	v_add_f64 v[86:87], v[86:87], -v[102:103]
	v_add_f64 v[12:13], v[12:13], -v[68:69]
	s_waitcnt lgkmcnt(0)
	s_barrier
	v_add_f64 v[52:53], v[98:99], v[52:53]
	v_add_f64 v[100:101], v[100:101], v[122:123]
	v_add_f64 v[52:53], v[94:95], v[52:53]
	v_fma_f64 v[96:97], v[100:101], s[6:7], v[96:97]
	v_fma_f64 v[100:101], v[100:101], s[6:7], v[120:121]
	v_add_f64 v[120:121], v[102:103], v[94:95]
	v_add_f64 v[94:95], v[98:99], -v[94:95]
	v_add_f64 v[98:99], v[74:75], -v[82:83]
	v_fma_f64 v[106:107], v[120:121], -0.5, v[106:107]
	v_add_f64 v[86:87], v[86:87], v[94:95]
	v_add_f64 v[80:81], v[98:99], v[80:81]
	v_fma_f64 v[120:121], v[84:85], s[14:15], v[106:107]
	v_fma_f64 v[84:85], v[84:85], s[4:5], v[106:107]
	;; [unrolled: 1-line block ×4, first 2 shown]
	v_add_f64 v[92:93], v[66:67], v[82:83]
	v_fma_f64 v[94:95], v[86:87], s[6:7], v[120:121]
	v_fma_f64 v[84:85], v[86:87], s[6:7], v[84:85]
	v_fma_f64 v[92:93], v[92:93], -0.5, v[90:91]
	v_add_f64 v[86:87], v[90:91], v[78:79]
	ds_write2_b64 v16, v[52:53], v[96:97] offset1:1
	ds_write2_b64 v16, v[94:95], v[84:85] offset0:2 offset1:3
	ds_write_b64 v16, v[100:101] offset:32
	v_fma_f64 v[76:77], v[72:73], s[4:5], v[92:93]
	v_fma_f64 v[92:93], v[72:73], s[14:15], v[92:93]
	v_add_f64 v[86:87], v[66:67], v[86:87]
	v_add_f64 v[66:67], v[66:67], -v[78:79]
	v_fma_f64 v[76:77], v[64:65], s[12:13], v[76:77]
	v_fma_f64 v[92:93], v[64:65], s[10:11], v[92:93]
	v_add_f64 v[86:87], v[82:83], v[86:87]
	v_fma_f64 v[76:77], v[80:81], s[6:7], v[76:77]
	v_fma_f64 v[80:81], v[80:81], s[6:7], v[92:93]
	v_add_f64 v[92:93], v[74:75], v[78:79]
	v_add_f64 v[86:87], v[74:75], v[86:87]
	v_add_f64 v[74:75], v[82:83], -v[74:75]
	v_add_f64 v[78:79], v[58:59], -v[46:47]
	v_fma_f64 v[90:91], v[92:93], -0.5, v[90:91]
	v_add_f64 v[66:67], v[74:75], v[66:67]
	v_fma_f64 v[92:93], v[64:65], s[14:15], v[90:91]
	v_fma_f64 v[64:65], v[64:65], s[4:5], v[90:91]
	;; [unrolled: 1-line block ×6, first 2 shown]
	v_add_f64 v[64:65], v[54:55], v[10:11]
	v_add_f64 v[64:65], v[64:65], v[42:43]
	;; [unrolled: 1-line block ×5, first 2 shown]
	v_fma_f64 v[64:65], v[64:65], -0.5, v[54:55]
	v_fma_f64 v[56:57], v[8:9], s[4:5], v[64:65]
	v_fma_f64 v[64:65], v[8:9], s[14:15], v[64:65]
	;; [unrolled: 1-line block ×3, first 2 shown]
	v_add_f64 v[56:57], v[10:11], -v[42:43]
	v_fma_f64 v[64:65], v[40:41], s[10:11], v[64:65]
	v_add_f64 v[56:57], v[56:57], v[78:79]
	v_fma_f64 v[44:45], v[56:57], s[6:7], v[44:45]
	v_fma_f64 v[78:79], v[56:57], s[6:7], v[64:65]
	v_add_f64 v[56:57], v[10:11], v[58:59]
	v_add_f64 v[10:11], v[42:43], -v[10:11]
	v_add_f64 v[42:43], v[46:47], -v[58:59]
	;; [unrolled: 1-line block ×4, first 2 shown]
	v_fma_f64 v[54:55], v[56:57], -0.5, v[54:55]
	v_add_f64 v[10:11], v[10:11], v[42:43]
	v_fma_f64 v[56:57], v[40:41], s[14:15], v[54:55]
	v_fma_f64 v[40:41], v[40:41], s[4:5], v[54:55]
	v_add_f64 v[54:55], v[70:71], -v[62:63]
	v_fma_f64 v[56:57], v[8:9], s[12:13], v[56:57]
	v_fma_f64 v[8:9], v[8:9], s[10:11], v[40:41]
	v_add_f64 v[48:49], v[54:55], v[48:49]
	v_fma_f64 v[42:43], v[10:11], s[6:7], v[56:57]
	v_fma_f64 v[8:9], v[10:11], s[6:7], v[8:9]
	v_add_f64 v[10:11], v[14:15], v[18:19]
	v_add_f64 v[10:11], v[50:51], v[10:11]
	;; [unrolled: 1-line block ×5, first 2 shown]
	v_fma_f64 v[10:11], v[10:11], -0.5, v[18:19]
	v_fma_f64 v[40:41], v[12:13], s[4:5], v[10:11]
	v_fma_f64 v[10:11], v[12:13], s[14:15], v[10:11]
	;; [unrolled: 1-line block ×6, first 2 shown]
	v_add_f64 v[10:11], v[70:71], v[14:15]
	v_add_f64 v[14:15], v[50:51], -v[14:15]
	v_add_f64 v[40:41], v[62:63], -v[70:71]
	v_fma_f64 v[10:11], v[10:11], -0.5, v[18:19]
	v_add_f64 v[14:15], v[40:41], v[14:15]
	v_fma_f64 v[17:18], v[46:47], s[14:15], v[10:11]
	v_fma_f64 v[10:11], v[46:47], s[4:5], v[10:11]
	v_fma_f64 v[17:18], v[12:13], s[12:13], v[17:18]
	v_fma_f64 v[10:11], v[12:13], s[10:11], v[10:11]
	v_fma_f64 v[62:63], v[14:15], s[6:7], v[17:18]
	v_fma_f64 v[64:65], v[14:15], s[6:7], v[10:11]
	v_add_u32_e32 v10, 0x1388, v16
	ds_write2_b64 v10, v[86:87], v[76:77] offset1:1
	v_add_u32_e32 v10, 0x1398, v16
	ds_write2_b64 v10, v[74:75], v[66:67] offset1:1
	ds_write_b64 v16, v[80:81] offset:5032
	v_add_u32_e32 v10, 0x2710, v16
	ds_write2_b64 v10, v[72:73], v[44:45] offset1:1
	v_add_u32_e32 v10, 0x2720, v16
	ds_write2_b64 v10, v[42:43], v[8:9] offset1:1
	ds_write_b64 v16, v[78:79] offset:10032
	s_and_saveexec_b64 s[4:5], vcc
	s_cbranch_execz .LBB0_19
; %bb.18:
	v_add_u32_e32 v8, 0x3a98, v16
	ds_write2_b64 v8, v[56:57], v[60:61] offset1:1
	v_add_u32_e32 v8, 0x3aa8, v16
	ds_write2_b64 v8, v[62:63], v[64:65] offset1:1
	ds_write_b64 v16, v[58:59] offset:15032
.LBB0_19:
	s_or_b64 exec, exec, s[4:5]
	v_add_u32_e32 v40, 0x3000, v128
	s_waitcnt lgkmcnt(0)
	s_barrier
	v_add_u32_e32 v16, 0x1800, v128
	ds_read2_b64 v[52:55], v40 offset0:64 offset1:189
	v_add_u32_e32 v40, 0x1000, v128
	v_add_u32_e32 v8, 0x600, v128
	ds_read2_b64 v[48:51], v16 offset0:32 offset1:157
	v_add_u32_e32 v16, 0x2000, v128
	ds_read2_b64 v[44:47], v40 offset0:13 offset1:138
	v_add_u32_e32 v40, 0x2800, v128
	ds_read2_b64 v[12:15], v128 offset1:125
	ds_read2_b64 v[8:11], v8 offset0:58 offset1:208
	ds_read2_b64 v[16:19], v16 offset0:26 offset1:176
	;; [unrolled: 1-line block ×3, first 2 shown]
	ds_read_b64 v[66:67], v128 offset:14800
	s_and_saveexec_b64 s[4:5], vcc
	s_cbranch_execz .LBB0_21
; %bb.20:
	ds_read_b64 v[56:57], v128 offset:3000
	ds_read_b64 v[60:61], v128 offset:6200
	;; [unrolled: 1-line block ×5, first 2 shown]
.LBB0_21:
	s_or_b64 exec, exec, s[4:5]
	s_movk_i32 s4, 0xcd
	v_mul_lo_u16_sdwa v68, v111, s4 dst_sel:DWORD dst_unused:UNUSED_PAD src0_sel:BYTE_0 src1_sel:DWORD
	v_lshrrev_b16_e32 v132, 10, v68
	v_mul_lo_u16_e32 v68, 5, v132
	v_add_u16_e32 v130, 0x7d, v111
	v_sub_u16_e32 v133, v111, v68
	v_mul_lo_u16_sdwa v68, v130, s4 dst_sel:DWORD dst_unused:UNUSED_PAD src0_sel:BYTE_0 src1_sel:DWORD
	v_lshrrev_b16_e32 v68, 10, v68
	v_add_u32_e32 v129, 0xfa, v111
	s_mov_b32 s4, 0xcccd
	v_mul_lo_u16_e32 v69, 5, v68
	v_mul_u32_u24_sdwa v90, v129, s4 dst_sel:DWORD dst_unused:UNUSED_PAD src0_sel:WORD_0 src1_sel:DWORD
	v_mov_b32_e32 v74, 6
	v_sub_u16_e32 v69, v130, v69
	v_lshrrev_b32_e32 v134, 18, v90
	v_lshlrev_b32_sdwa v86, v74, v133 dst_sel:DWORD dst_unused:UNUSED_PAD src0_sel:DWORD src1_sel:BYTE_0
	v_lshlrev_b32_sdwa v87, v74, v69 dst_sel:DWORD dst_unused:UNUSED_PAD src0_sel:DWORD src1_sel:BYTE_0
	v_mul_lo_u16_e32 v90, 5, v134
	global_load_dwordx4 v[70:73], v86, s[8:9] offset:16
	global_load_dwordx4 v[74:77], v86, s[8:9] offset:48
	;; [unrolled: 1-line block ×4, first 2 shown]
	global_load_dwordx4 v[92:95], v87, s[8:9]
	v_sub_u16_e32 v135, v129, v90
	v_lshlrev_b32_e32 v90, 6, v135
	global_load_dwordx4 v[124:127], v90, s[8:9]
	global_load_dwordx4 v[138:141], v86, s[8:9] offset:32
	global_load_dwordx4 v[142:145], v90, s[8:9] offset:16
	;; [unrolled: 1-line block ×5, first 2 shown]
	global_load_dwordx4 v[158:161], v86, s[8:9]
	v_add_u32_e32 v131, 0x177, v111
	v_mul_u32_u24_sdwa v87, v131, s4 dst_sel:DWORD dst_unused:UNUSED_PAD src0_sel:WORD_0 src1_sel:DWORD
	v_lshrrev_b32_e32 v136, 18, v87
	v_mul_lo_u16_e32 v87, 5, v136
	v_sub_u16_e32 v137, v131, v87
	v_lshlrev_b32_e32 v86, 6, v137
	global_load_dwordx4 v[162:165], v86, s[8:9]
	global_load_dwordx4 v[166:169], v86, s[8:9] offset:16
	global_load_dwordx4 v[170:173], v86, s[8:9] offset:32
	;; [unrolled: 1-line block ×3, first 2 shown]
	s_mov_b32 s10, 0x134454ff
	s_mov_b32 s11, 0xbfee6f0e
	;; [unrolled: 1-line block ×10, first 2 shown]
	s_waitcnt vmcnt(0) lgkmcnt(0)
	s_barrier
	v_mul_f64 v[86:87], v[48:49], v[72:73]
	v_mul_f64 v[72:73], v[32:33], v[72:73]
	;; [unrolled: 1-line block ×16, first 2 shown]
	v_fma_f64 v[120:121], v[32:33], v[70:71], v[86:87]
	v_fma_f64 v[96:97], v[48:49], v[70:71], -v[72:73]
	v_fma_f64 v[90:91], v[34:35], v[82:83], v[90:91]
	v_fma_f64 v[72:73], v[50:51], v[82:83], -v[84:85]
	;; [unrolled: 2-line block ×3, first 2 shown]
	v_fma_f64 v[124:125], v[22:23], v[138:139], v[182:183]
	v_mul_f64 v[140:141], v[22:23], v[140:141]
	v_fma_f64 v[122:123], v[36:37], v[74:75], v[98:99]
	v_fma_f64 v[100:101], v[52:53], v[74:75], -v[76:77]
	v_fma_f64 v[74:75], v[54:55], v[78:79], -v[80:81]
	v_fma_f64 v[98:99], v[28:29], v[92:93], v[106:107]
	v_fma_f64 v[54:55], v[16:17], v[142:143], -v[144:145]
	v_fma_f64 v[106:107], v[10:11], v[158:159], -v[160:161]
	v_add_f64 v[16:17], v[120:121], v[124:125]
	v_fma_f64 v[126:127], v[2:3], v[158:159], v[192:193]
	v_mul_f64 v[178:179], v[28:29], v[94:95]
	v_mul_f64 v[186:187], v[40:41], v[148:149]
	;; [unrolled: 1-line block ×3, first 2 shown]
	v_fma_f64 v[94:95], v[38:39], v[78:79], v[102:103]
	v_fma_f64 v[102:103], v[18:19], v[138:139], -v[140:141]
	v_add_f64 v[2:3], v[106:107], -v[100:101]
	v_fma_f64 v[16:17], v[16:17], -0.5, v[4:5]
	v_add_f64 v[18:19], v[126:127], v[122:123]
	v_mul_f64 v[148:149], v[24:25], v[148:149]
	v_mul_f64 v[152:153], v[26:27], v[152:153]
	v_fma_f64 v[76:77], v[44:45], v[92:93], -v[178:179]
	v_fma_f64 v[78:79], v[20:21], v[142:143], v[184:185]
	v_fma_f64 v[92:93], v[24:25], v[146:147], v[186:187]
	;; [unrolled: 1-line block ×3, first 2 shown]
	v_add_f64 v[20:21], v[96:97], -v[102:103]
	v_add_f64 v[22:23], v[126:127], -v[120:121]
	;; [unrolled: 1-line block ×3, first 2 shown]
	v_fma_f64 v[26:27], v[2:3], s[10:11], v[16:17]
	v_fma_f64 v[18:19], v[18:19], -0.5, v[4:5]
	v_fma_f64 v[16:17], v[2:3], s[12:13], v[16:17]
	v_fma_f64 v[84:85], v[40:41], v[146:147], -v[148:149]
	v_add_f64 v[28:29], v[90:91], v[92:93]
	v_add_f64 v[30:31], v[120:121], -v[126:127]
	v_add_f64 v[32:33], v[124:125], -v[122:123]
	v_add_f64 v[22:23], v[22:23], v[24:25]
	v_fma_f64 v[24:25], v[20:21], s[6:7], v[26:27]
	v_fma_f64 v[26:27], v[20:21], s[12:13], v[18:19]
	;; [unrolled: 1-line block ×4, first 2 shown]
	v_mul_f64 v[190:191], v[66:67], v[156:157]
	v_mul_f64 v[194:195], v[60:61], v[164:165]
	;; [unrolled: 1-line block ×5, first 2 shown]
	v_fma_f64 v[20:21], v[2:3], s[6:7], v[26:27]
	v_add_f64 v[26:27], v[98:99], v[94:95]
	v_mul_f64 v[156:157], v[118:119], v[156:157]
	v_mul_f64 v[196:197], v[62:63], v[168:169]
	;; [unrolled: 1-line block ×5, first 2 shown]
	v_add_f64 v[34:35], v[76:77], -v[74:75]
	v_fma_f64 v[28:29], v[28:29], -0.5, v[6:7]
	v_add_f64 v[30:31], v[30:31], v[32:33]
	v_fma_f64 v[2:3], v[2:3], s[14:15], v[18:19]
	v_add_f64 v[32:33], v[72:73], -v[84:85]
	v_fma_f64 v[26:27], v[26:27], -0.5, v[6:7]
	v_fma_f64 v[86:87], v[118:119], v[154:155], v[190:191]
	v_fma_f64 v[10:11], v[60:61], v[162:163], -v[164:165]
	v_fma_f64 v[36:37], v[58:59], v[174:175], -v[176:177]
	v_add_f64 v[58:59], v[98:99], -v[90:91]
	v_add_f64 v[60:61], v[94:95], -v[92:93]
	v_fma_f64 v[48:49], v[66:67], v[154:155], -v[156:157]
	v_fma_f64 v[38:39], v[62:63], v[166:167], -v[168:169]
	;; [unrolled: 1-line block ×3, first 2 shown]
	v_fma_f64 v[18:19], v[34:35], s[10:11], v[28:29]
	v_fma_f64 v[28:29], v[34:35], s[12:13], v[28:29]
	v_fma_f64 v[24:25], v[22:23], s[4:5], v[24:25]
	v_fma_f64 v[16:17], v[22:23], s[4:5], v[16:17]
	v_fma_f64 v[20:21], v[30:31], s[4:5], v[20:21]
	v_add_f64 v[22:23], v[90:91], -v[98:99]
	v_add_f64 v[62:63], v[92:93], -v[94:95]
	v_fma_f64 v[2:3], v[30:31], s[4:5], v[2:3]
	v_add_f64 v[30:31], v[78:79], v[80:81]
	v_fma_f64 v[64:65], v[32:33], s[12:13], v[26:27]
	v_fma_f64 v[26:27], v[32:33], s[10:11], v[26:27]
	v_fma_f64 v[42:43], v[42:43], v[150:151], -v[152:153]
	v_add_f64 v[58:59], v[58:59], v[60:61]
	v_add_f64 v[60:61], v[82:83], v[86:87]
	;; [unrolled: 1-line block ×3, first 2 shown]
	v_fma_f64 v[18:19], v[32:33], s[6:7], v[18:19]
	v_fma_f64 v[28:29], v[32:33], s[14:15], v[28:29]
	v_add_f64 v[22:23], v[22:23], v[62:63]
	v_fma_f64 v[30:31], v[30:31], -0.5, v[0:1]
	v_fma_f64 v[32:33], v[34:35], s[6:7], v[64:65]
	v_fma_f64 v[26:27], v[34:35], s[14:15], v[26:27]
	v_add_f64 v[34:35], v[50:51], -v[48:49]
	v_fma_f64 v[60:61], v[60:61], -0.5, v[0:1]
	v_add_f64 v[62:63], v[54:55], -v[42:43]
	v_add_f64 v[4:5], v[4:5], v[120:121]
	v_fma_f64 v[70:71], v[104:105], v[174:175], v[200:201]
	v_fma_f64 v[18:19], v[58:59], s[4:5], v[18:19]
	;; [unrolled: 1-line block ×3, first 2 shown]
	v_add_f64 v[58:59], v[82:83], -v[78:79]
	v_fma_f64 v[32:33], v[22:23], s[4:5], v[32:33]
	v_fma_f64 v[22:23], v[22:23], s[4:5], v[26:27]
	v_add_f64 v[26:27], v[86:87], -v[80:81]
	v_fma_f64 v[64:65], v[34:35], s[10:11], v[30:31]
	v_fma_f64 v[30:31], v[34:35], s[12:13], v[30:31]
	v_add_f64 v[66:67], v[78:79], -v[82:83]
	v_add_f64 v[104:105], v[80:81], -v[86:87]
	v_fma_f64 v[44:45], v[112:113], v[162:163], v[194:195]
	v_fma_f64 v[112:113], v[62:63], s[12:13], v[60:61]
	;; [unrolled: 1-line block ×5, first 2 shown]
	v_add_f64 v[4:5], v[4:5], v[124:125]
	v_add_f64 v[26:27], v[58:59], v[26:27]
	v_fma_f64 v[58:59], v[62:63], s[6:7], v[64:65]
	v_fma_f64 v[30:31], v[62:63], s[14:15], v[30:31]
	v_add_f64 v[62:63], v[66:67], v[104:105]
	v_mov_b32_e32 v104, 3
	v_fma_f64 v[64:65], v[34:35], s[6:7], v[112:113]
	v_fma_f64 v[34:35], v[34:35], s[14:15], v[60:61]
	v_mul_u32_u24_e32 v60, 0xc8, v132
	v_lshlrev_b32_sdwa v61, v104, v133 dst_sel:DWORD dst_unused:UNUSED_PAD src0_sel:DWORD src1_sel:BYTE_0
	v_add_f64 v[66:67], v[46:47], v[52:53]
	v_add3_u32 v105, 0, v60, v61
	v_add_f64 v[4:5], v[4:5], v[122:123]
	v_add_f64 v[60:61], v[44:45], v[70:71]
	;; [unrolled: 1-line block ×4, first 2 shown]
	v_add_f64 v[112:113], v[10:11], -v[36:37]
	v_add_f64 v[118:119], v[38:39], -v[40:41]
	v_fma_f64 v[66:67], v[66:67], -0.5, v[88:89]
	v_add_f64 v[114:115], v[44:45], -v[46:47]
	ds_write2_b64 v105, v[4:5], v[24:25] offset1:5
	v_fma_f64 v[60:61], v[60:61], -0.5, v[88:89]
	v_add_f64 v[24:25], v[88:89], v[44:45]
	v_add_f64 v[116:117], v[70:71], -v[52:53]
	v_add_f64 v[138:139], v[46:47], -v[44:45]
	;; [unrolled: 1-line block ×3, first 2 shown]
	v_fma_f64 v[132:133], v[112:113], s[10:11], v[66:67]
	v_fma_f64 v[66:67], v[112:113], s[12:13], v[66:67]
	v_add_f64 v[6:7], v[6:7], v[90:91]
	v_fma_f64 v[88:89], v[118:119], s[12:13], v[60:61]
	v_fma_f64 v[60:61], v[118:119], s[10:11], v[60:61]
	v_add_f64 v[0:1], v[0:1], v[78:79]
	v_add_f64 v[24:25], v[24:25], v[46:47]
	;; [unrolled: 1-line block ×3, first 2 shown]
	v_fma_f64 v[114:115], v[118:119], s[6:7], v[132:133]
	v_fma_f64 v[116:117], v[118:119], s[14:15], v[66:67]
	v_add_f64 v[118:119], v[138:139], v[140:141]
	v_fma_f64 v[88:89], v[112:113], s[6:7], v[88:89]
	v_fma_f64 v[112:113], v[112:113], s[14:15], v[60:61]
	v_add_f64 v[6:7], v[6:7], v[92:93]
	v_add_f64 v[0:1], v[0:1], v[80:81]
	;; [unrolled: 1-line block ×3, first 2 shown]
	v_fma_f64 v[132:133], v[26:27], s[4:5], v[58:59]
	v_fma_f64 v[26:27], v[26:27], s[4:5], v[30:31]
	;; [unrolled: 1-line block ×8, first 2 shown]
	v_add_f64 v[4:5], v[6:7], v[94:95]
	v_add_f64 v[0:1], v[0:1], v[86:87]
	v_add_f64 v[58:59], v[24:25], v[70:71]
	ds_write2_b64 v105, v[20:21], v[2:3] offset0:10 offset1:15
	ds_write_b64 v105, v[16:17] offset:160
	v_mul_u32_u24_e32 v2, 0xc8, v68
	v_lshlrev_b32_sdwa v3, v104, v69 dst_sel:DWORD dst_unused:UNUSED_PAD src0_sel:DWORD src1_sel:BYTE_0
	v_add3_u32 v88, 0, v2, v3
	v_mul_u32_u24_e32 v2, 0xc8, v134
	v_lshlrev_b32_e32 v3, 3, v135
	v_add3_u32 v113, 0, v2, v3
	v_mul_lo_u16_e32 v89, 25, v136
	v_lshlrev_b32_e32 v112, 3, v137
	ds_write2_b64 v88, v[4:5], v[18:19] offset1:5
	ds_write2_b64 v88, v[32:33], v[22:23] offset0:10 offset1:15
	ds_write_b64 v88, v[28:29] offset:160
	ds_write2_b64 v113, v[0:1], v[132:133] offset1:5
	ds_write2_b64 v113, v[30:31], v[34:35] offset0:10 offset1:15
	ds_write_b64 v113, v[26:27] offset:160
	s_and_saveexec_b64 s[4:5], vcc
	s_cbranch_execz .LBB0_23
; %bb.22:
	v_lshlrev_b32_e32 v0, 3, v89
	v_add3_u32 v0, 0, v112, v0
	ds_write2_b64 v0, v[58:59], v[66:67] offset1:5
	ds_write2_b64 v0, v[64:65], v[62:63] offset0:10 offset1:15
	ds_write_b64 v0, v[60:61] offset:160
.LBB0_23:
	s_or_b64 exec, exec, s[4:5]
	v_add_u32_e32 v20, 0x3000, v128
	s_waitcnt lgkmcnt(0)
	s_barrier
	v_add_u32_e32 v16, 0x1800, v128
	ds_read2_b64 v[32:35], v20 offset0:64 offset1:189
	v_add_u32_e32 v20, 0x1000, v128
	v_add_u32_e32 v0, 0x600, v128
	ds_read2_b64 v[28:31], v16 offset0:32 offset1:157
	v_add_u32_e32 v16, 0x2000, v128
	ds_read2_b64 v[24:27], v20 offset0:13 offset1:138
	v_add_u32_e32 v20, 0x2800, v128
	ds_read2_b64 v[4:7], v128 offset1:125
	ds_read2_b64 v[0:3], v0 offset0:58 offset1:208
	ds_read2_b64 v[16:19], v16 offset0:26 offset1:176
	;; [unrolled: 1-line block ×3, first 2 shown]
	ds_read_b64 v[68:69], v128 offset:14800
	v_lshl_add_u32 v104, v111, 3, 0
	s_and_saveexec_b64 s[4:5], vcc
	s_cbranch_execz .LBB0_25
; %bb.24:
	ds_read_b64 v[58:59], v104 offset:3000
	ds_read_b64 v[66:67], v128 offset:6200
	;; [unrolled: 1-line block ×5, first 2 shown]
.LBB0_25:
	s_or_b64 exec, exec, s[4:5]
	v_add_f64 v[114:115], v[12:13], v[106:107]
	v_add_f64 v[116:117], v[96:97], v[102:103]
	v_add_f64 v[118:119], v[126:127], -v[122:123]
	v_add_f64 v[120:121], v[120:121], -v[124:125]
	v_add_f64 v[124:125], v[106:107], v[100:101]
	s_mov_b32 s4, 0x134454ff
	s_mov_b32 s5, 0x3fee6f0e
	v_add_f64 v[122:123], v[106:107], -v[96:97]
	v_add_f64 v[114:115], v[114:115], v[96:97]
	v_fma_f64 v[116:117], v[116:117], -0.5, v[12:13]
	v_add_f64 v[126:127], v[100:101], -v[102:103]
	s_mov_b32 s6, 0x4755a5e
	v_fma_f64 v[12:13], v[124:125], -0.5, v[12:13]
	s_mov_b32 s7, 0x3fe2cf23
	s_mov_b32 s15, 0xbfee6f0e
	;; [unrolled: 1-line block ×3, first 2 shown]
	v_add_f64 v[114:115], v[114:115], v[102:103]
	v_fma_f64 v[132:133], v[118:119], s[4:5], v[116:117]
	v_add_f64 v[122:123], v[122:123], v[126:127]
	v_fma_f64 v[116:117], v[118:119], s[14:15], v[116:117]
	;; [unrolled: 2-line block ×3, first 2 shown]
	v_add_f64 v[96:97], v[96:97], -v[106:107]
	v_fma_f64 v[12:13], v[120:121], s[4:5], v[12:13]
	v_add_f64 v[114:115], v[114:115], v[100:101]
	v_fma_f64 v[124:125], v[120:121], s[6:7], v[132:133]
	v_add_f64 v[132:133], v[72:73], v[84:85]
	v_add_f64 v[100:101], v[102:103], -v[100:101]
	s_mov_b32 s13, 0xbfe2cf23
	s_mov_b32 s12, s6
	v_fma_f64 v[102:103], v[120:121], s[12:13], v[116:117]
	v_add_f64 v[106:107], v[126:127], v[72:73]
	v_add_f64 v[94:95], v[98:99], -v[94:95]
	v_fma_f64 v[98:99], v[118:119], s[6:7], v[134:135]
	v_fma_f64 v[116:117], v[132:133], -0.5, v[14:15]
	v_add_f64 v[96:97], v[96:97], v[100:101]
	v_fma_f64 v[12:13], v[118:119], s[12:13], v[12:13]
	v_add_f64 v[118:119], v[76:77], v[74:75]
	s_mov_b32 s10, 0x372fe950
	s_mov_b32 s11, 0x3fd3c6ef
	v_add_f64 v[106:107], v[106:107], v[84:85]
	v_add_f64 v[90:91], v[90:91], -v[92:93]
	v_fma_f64 v[120:121], v[94:95], s[4:5], v[116:117]
	v_fma_f64 v[92:93], v[96:97], s[10:11], v[98:99]
	v_add_f64 v[98:99], v[54:55], v[42:43]
	v_fma_f64 v[14:15], v[118:119], -0.5, v[14:15]
	v_fma_f64 v[100:101], v[122:123], s[10:11], v[124:125]
	v_fma_f64 v[102:103], v[122:123], s[10:11], v[102:103]
	v_add_f64 v[122:123], v[76:77], -v[72:73]
	v_add_f64 v[124:125], v[74:75], -v[84:85]
	v_fma_f64 v[12:13], v[96:97], s[10:11], v[12:13]
	v_add_f64 v[96:97], v[106:107], v[74:75]
	v_fma_f64 v[106:107], v[90:91], s[6:7], v[120:121]
	v_add_f64 v[118:119], v[8:9], v[50:51]
	v_fma_f64 v[98:99], v[98:99], -0.5, v[8:9]
	v_add_f64 v[82:83], v[82:83], -v[86:87]
	v_fma_f64 v[116:117], v[94:95], s[14:15], v[116:117]
	v_fma_f64 v[120:121], v[90:91], s[14:15], v[14:15]
	v_add_f64 v[72:73], v[72:73], -v[76:77]
	v_add_f64 v[74:75], v[84:85], -v[74:75]
	v_fma_f64 v[14:15], v[90:91], s[4:5], v[14:15]
	v_add_f64 v[86:87], v[122:123], v[124:125]
	v_add_f64 v[76:77], v[118:119], v[54:55]
	v_fma_f64 v[84:85], v[82:83], s[4:5], v[98:99]
	v_add_f64 v[78:79], v[78:79], -v[80:81]
	v_add_f64 v[80:81], v[50:51], -v[54:55]
	;; [unrolled: 1-line block ×3, first 2 shown]
	v_fma_f64 v[90:91], v[90:91], s[12:13], v[116:117]
	v_add_f64 v[116:117], v[50:51], v[48:49]
	v_fma_f64 v[120:121], v[94:95], s[6:7], v[120:121]
	v_add_f64 v[72:73], v[72:73], v[74:75]
	;; [unrolled: 2-line block ×4, first 2 shown]
	v_fma_f64 v[84:85], v[86:87], s[10:11], v[106:107]
	v_fma_f64 v[8:9], v[116:117], -0.5, v[8:9]
	v_fma_f64 v[86:87], v[86:87], s[10:11], v[90:91]
	v_fma_f64 v[90:91], v[72:73], s[10:11], v[120:121]
	;; [unrolled: 1-line block ×3, first 2 shown]
	v_add_f64 v[72:73], v[38:39], v[40:41]
	v_add_f64 v[50:51], v[54:55], -v[50:51]
	v_add_f64 v[54:55], v[10:11], v[36:37]
	v_add_f64 v[94:95], v[74:75], v[48:49]
	v_fma_f64 v[106:107], v[80:81], s[10:11], v[76:77]
	v_fma_f64 v[74:75], v[82:83], s[14:15], v[98:99]
	;; [unrolled: 1-line block ×3, first 2 shown]
	v_add_f64 v[42:43], v[42:43], -v[48:49]
	v_add_f64 v[48:49], v[56:57], v[10:11]
	v_fma_f64 v[72:73], v[72:73], -0.5, v[56:57]
	v_add_f64 v[44:45], v[44:45], -v[70:71]
	v_add_f64 v[46:47], v[46:47], -v[52:53]
	v_fma_f64 v[52:53], v[54:55], -0.5, v[56:57]
	v_fma_f64 v[70:71], v[78:79], s[12:13], v[74:75]
	v_fma_f64 v[74:75], v[82:83], s[6:7], v[76:77]
	v_add_f64 v[42:43], v[50:51], v[42:43]
	v_add_f64 v[48:49], v[48:49], v[38:39]
	v_add_f64 v[54:55], v[10:11], -v[38:39]
	v_fma_f64 v[50:51], v[44:45], s[4:5], v[72:73]
	v_add_f64 v[56:57], v[36:37], -v[40:41]
	v_fma_f64 v[72:73], v[44:45], s[14:15], v[72:73]
	v_fma_f64 v[76:77], v[46:47], s[14:15], v[52:53]
	v_add_f64 v[10:11], v[38:39], -v[10:11]
	v_add_f64 v[38:39], v[40:41], -v[36:37]
	v_fma_f64 v[52:53], v[46:47], s[4:5], v[52:53]
	v_fma_f64 v[8:9], v[78:79], s[4:5], v[8:9]
	v_add_f64 v[40:41], v[48:49], v[40:41]
	v_fma_f64 v[48:49], v[46:47], s[6:7], v[50:51]
	v_add_f64 v[50:51], v[54:55], v[56:57]
	v_fma_f64 v[46:47], v[46:47], s[12:13], v[72:73]
	v_fma_f64 v[54:55], v[44:45], s[6:7], v[76:77]
	v_add_f64 v[10:11], v[10:11], v[38:39]
	v_fma_f64 v[38:39], v[44:45], s[12:13], v[52:53]
	v_fma_f64 v[8:9], v[82:83], s[12:13], v[8:9]
	;; [unrolled: 1-line block ×4, first 2 shown]
	v_add_f64 v[56:57], v[40:41], v[36:37]
	v_fma_f64 v[74:75], v[50:51], s[10:11], v[48:49]
	v_fma_f64 v[70:71], v[50:51], s[10:11], v[46:47]
	;; [unrolled: 1-line block ×5, first 2 shown]
	s_waitcnt lgkmcnt(0)
	s_barrier
	ds_write2_b64 v105, v[114:115], v[100:101] offset1:5
	ds_write2_b64 v105, v[92:93], v[12:13] offset0:10 offset1:15
	ds_write_b64 v105, v[102:103] offset:160
	ds_write2_b64 v88, v[96:97], v[84:85] offset1:5
	ds_write2_b64 v88, v[90:91], v[14:15] offset0:10 offset1:15
	ds_write_b64 v88, v[86:87] offset:160
	;; [unrolled: 3-line block ×3, first 2 shown]
	s_and_saveexec_b64 s[4:5], vcc
	s_cbranch_execz .LBB0_27
; %bb.26:
	v_lshlrev_b32_e32 v8, 3, v89
	v_add3_u32 v8, 0, v112, v8
	ds_write2_b64 v8, v[56:57], v[74:75] offset1:5
	ds_write2_b64 v8, v[76:77], v[72:73] offset0:10 offset1:15
	ds_write_b64 v8, v[70:71] offset:160
.LBB0_27:
	s_or_b64 exec, exec, s[4:5]
	v_add_u32_e32 v40, 0x3000, v128
	s_waitcnt lgkmcnt(0)
	s_barrier
	v_add_u32_e32 v36, 0x1800, v128
	ds_read2_b64 v[52:55], v40 offset0:64 offset1:189
	v_add_u32_e32 v40, 0x1000, v128
	v_add_u32_e32 v8, 0x600, v128
	ds_read2_b64 v[48:51], v36 offset0:32 offset1:157
	v_add_u32_e32 v36, 0x2000, v128
	ds_read2_b64 v[44:47], v40 offset0:13 offset1:138
	v_add_u32_e32 v40, 0x2800, v128
	ds_read2_b64 v[12:15], v128 offset1:125
	ds_read2_b64 v[8:11], v8 offset0:58 offset1:208
	ds_read2_b64 v[36:39], v36 offset0:26 offset1:176
	;; [unrolled: 1-line block ×3, first 2 shown]
	ds_read_b64 v[78:79], v128 offset:14800
	s_and_saveexec_b64 s[4:5], vcc
	s_cbranch_execz .LBB0_29
; %bb.28:
	ds_read_b64 v[56:57], v104 offset:3000
	ds_read_b64 v[74:75], v128 offset:6200
	;; [unrolled: 1-line block ×5, first 2 shown]
.LBB0_29:
	s_or_b64 exec, exec, s[4:5]
	v_mov_b32_e32 v88, 41
	v_mul_lo_u16_sdwa v80, v111, v88 dst_sel:DWORD dst_unused:UNUSED_PAD src0_sel:BYTE_0 src1_sel:DWORD
	v_lshrrev_b16_e32 v107, 10, v80
	v_mul_lo_u16_e32 v80, 25, v107
	v_sub_u16_e32 v186, v111, v80
	v_mov_b32_e32 v89, 6
	v_lshlrev_b32_sdwa v98, v89, v186 dst_sel:DWORD dst_unused:UNUSED_PAD src0_sel:DWORD src1_sel:BYTE_0
	global_load_dwordx4 v[80:83], v98, s[8:9] offset:368
	global_load_dwordx4 v[84:87], v98, s[8:9] offset:352
	;; [unrolled: 1-line block ×4, first 2 shown]
	v_mul_lo_u16_sdwa v88, v130, v88 dst_sel:DWORD dst_unused:UNUSED_PAD src0_sel:BYTE_0 src1_sel:DWORD
	v_lshrrev_b16_e32 v187, 10, v88
	v_mul_lo_u16_e32 v88, 25, v187
	v_sub_u16_e32 v188, v130, v88
	v_lshlrev_b32_sdwa v88, v89, v188 dst_sel:DWORD dst_unused:UNUSED_PAD src0_sel:DWORD src1_sel:BYTE_0
	s_movk_i32 s4, 0x47af
	global_load_dwordx4 v[112:115], v88, s[8:9] offset:368
	global_load_dwordx4 v[116:119], v88, s[8:9] offset:352
	;; [unrolled: 1-line block ×4, first 2 shown]
	v_mul_u32_u24_sdwa v88, v129, s4 dst_sel:DWORD dst_unused:UNUSED_PAD src0_sel:WORD_0 src1_sel:DWORD
	v_sub_u16_sdwa v89, v129, v88 dst_sel:DWORD dst_unused:UNUSED_PAD src0_sel:DWORD src1_sel:WORD_1
	v_lshrrev_b16_e32 v89, 1, v89
	v_add_u16_sdwa v88, v89, v88 dst_sel:DWORD dst_unused:UNUSED_PAD src0_sel:DWORD src1_sel:WORD_1
	v_lshrrev_b16_e32 v189, 4, v88
	v_mul_lo_u16_e32 v88, 25, v189
	v_sub_u16_e32 v190, v129, v88
	v_lshlrev_b32_e32 v88, 6, v190
	global_load_dwordx4 v[132:135], v88, s[8:9] offset:368
	global_load_dwordx4 v[136:139], v88, s[8:9] offset:352
	;; [unrolled: 1-line block ×4, first 2 shown]
	v_mul_u32_u24_sdwa v88, v131, s4 dst_sel:DWORD dst_unused:UNUSED_PAD src0_sel:WORD_0 src1_sel:DWORD
	v_sub_u16_sdwa v89, v131, v88 dst_sel:DWORD dst_unused:UNUSED_PAD src0_sel:DWORD src1_sel:WORD_1
	v_lshrrev_b16_e32 v89, 1, v89
	v_add_u16_sdwa v88, v89, v88 dst_sel:DWORD dst_unused:UNUSED_PAD src0_sel:DWORD src1_sel:WORD_1
	v_lshrrev_b16_e32 v88, 4, v88
	v_mul_lo_u16_e32 v88, 25, v88
	v_sub_u16_e32 v131, v131, v88
	v_lshlrev_b32_e32 v88, 6, v131
	global_load_dwordx4 v[148:151], v88, s[8:9] offset:320
	global_load_dwordx4 v[152:155], v88, s[8:9] offset:336
	;; [unrolled: 1-line block ×4, first 2 shown]
	s_mov_b32 s6, 0x134454ff
	s_mov_b32 s7, 0xbfee6f0e
	;; [unrolled: 1-line block ×8, first 2 shown]
	s_waitcnt vmcnt(0) lgkmcnt(0)
	s_barrier
	v_mul_f64 v[105:106], v[52:53], v[82:83]
	v_mul_f64 v[102:103], v[38:39], v[86:87]
	;; [unrolled: 1-line block ×11, first 2 shown]
	v_fma_f64 v[96:97], v[2:3], v[94:95], v[88:89]
	v_fma_f64 v[88:89], v[10:11], v[94:95], -v[98:99]
	v_fma_f64 v[98:99], v[28:29], v[90:91], v[100:101]
	v_fma_f64 v[100:101], v[18:19], v[84:85], v[102:103]
	v_mul_f64 v[126:127], v[24:25], v[126:127]
	v_mul_f64 v[122:123], v[30:31], v[122:123]
	;; [unrolled: 1-line block ×4, first 2 shown]
	v_add_f64 v[28:29], v[4:5], v[96:97]
	v_mul_f64 v[170:171], v[46:47], v[146:147]
	v_mul_f64 v[146:147], v[26:27], v[146:147]
	v_fma_f64 v[86:87], v[38:39], v[84:85], -v[86:87]
	v_fma_f64 v[102:103], v[32:33], v[80:81], v[105:106]
	v_fma_f64 v[80:81], v[52:53], v[80:81], -v[82:83]
	v_mul_f64 v[178:179], v[74:75], v[150:151]
	v_mul_f64 v[150:151], v[66:67], v[150:151]
	v_fma_f64 v[82:83], v[30:31], v[120:121], v[164:165]
	v_mul_f64 v[184:185], v[70:71], v[162:163]
	v_mul_f64 v[162:163], v[60:61], v[162:163]
	v_fma_f64 v[84:85], v[20:21], v[116:117], v[166:167]
	v_add_f64 v[30:31], v[98:99], v[100:101]
	v_add_f64 v[28:29], v[28:29], v[98:99]
	v_mul_f64 v[118:119], v[20:21], v[118:119]
	v_mul_f64 v[172:173], v[36:37], v[142:143]
	;; [unrolled: 1-line block ×10, first 2 shown]
	v_fma_f64 v[90:91], v[48:49], v[90:91], -v[92:93]
	v_fma_f64 v[92:93], v[24:25], v[124:125], v[129:130]
	v_fma_f64 v[52:53], v[44:45], v[124:125], -v[126:127]
	v_fma_f64 v[48:49], v[54:55], v[112:113], -v[114:115]
	;; [unrolled: 1-line block ×3, first 2 shown]
	v_add_f64 v[46:47], v[88:89], -v[80:81]
	v_fma_f64 v[54:55], v[30:31], -0.5, v[4:5]
	v_fma_f64 v[30:31], v[74:75], v[148:149], -v[150:151]
	v_add_f64 v[74:75], v[28:29], v[100:101]
	v_fma_f64 v[44:45], v[60:61], v[160:161], v[184:185]
	v_fma_f64 v[28:29], v[70:71], v[160:161], -v[162:163]
	v_add_f64 v[60:61], v[96:97], v[102:103]
	v_add_f64 v[70:71], v[82:83], v[84:85]
	v_mul_f64 v[134:135], v[68:69], v[134:135]
	v_fma_f64 v[50:51], v[50:51], v[120:121], -v[122:123]
	v_fma_f64 v[24:25], v[40:41], v[116:117], -v[118:119]
	v_fma_f64 v[94:95], v[34:35], v[112:113], v[168:169]
	v_fma_f64 v[20:21], v[16:17], v[140:141], v[172:173]
	v_fma_f64 v[18:19], v[36:37], v[140:141], -v[142:143]
	v_fma_f64 v[16:17], v[42:43], v[136:137], -v[138:139]
	v_fma_f64 v[42:43], v[68:69], v[132:133], v[176:177]
	v_fma_f64 v[40:41], v[66:67], v[148:149], v[178:179]
	;; [unrolled: 1-line block ×3, first 2 shown]
	v_fma_f64 v[32:33], v[76:77], v[152:153], -v[154:155]
	v_add_f64 v[64:65], v[90:91], -v[86:87]
	v_add_f64 v[66:67], v[96:97], -v[98:99]
	;; [unrolled: 1-line block ×3, first 2 shown]
	v_fma_f64 v[76:77], v[46:47], s[6:7], v[54:55]
	v_fma_f64 v[34:35], v[72:73], v[156:157], -v[158:159]
	v_fma_f64 v[4:5], v[60:61], -0.5, v[4:5]
	v_fma_f64 v[54:55], v[46:47], s[12:13], v[54:55]
	v_add_f64 v[60:61], v[6:7], v[92:93]
	v_fma_f64 v[70:71], v[70:71], -0.5, v[6:7]
	v_add_f64 v[72:73], v[52:53], -v[48:49]
	v_fma_f64 v[22:23], v[22:23], v[136:137], v[174:175]
	v_fma_f64 v[2:3], v[78:79], v[132:133], -v[134:135]
	v_fma_f64 v[38:39], v[62:63], v[156:157], v[182:183]
	v_add_f64 v[62:63], v[66:67], v[68:69]
	v_add_f64 v[66:67], v[74:75], v[102:103]
	v_fma_f64 v[68:69], v[64:65], s[4:5], v[76:77]
	v_fma_f64 v[74:75], v[64:65], s[12:13], v[4:5]
	v_add_f64 v[76:77], v[98:99], -v[96:97]
	v_add_f64 v[78:79], v[100:101], -v[102:103]
	v_fma_f64 v[4:5], v[64:65], s[6:7], v[4:5]
	v_add_f64 v[60:61], v[60:61], v[82:83]
	v_fma_f64 v[105:106], v[72:73], s[6:7], v[70:71]
	v_add_f64 v[112:113], v[50:51], -v[24:25]
	v_add_f64 v[114:115], v[92:93], -v[82:83]
	;; [unrolled: 1-line block ×3, first 2 shown]
	v_fma_f64 v[54:55], v[64:65], s[14:15], v[54:55]
	v_fma_f64 v[26:27], v[26:27], v[144:145], v[170:171]
	v_add_f64 v[64:65], v[92:93], v[94:95]
	v_fma_f64 v[74:75], v[46:47], s[4:5], v[74:75]
	v_add_f64 v[76:77], v[76:77], v[78:79]
	;; [unrolled: 2-line block ×4, first 2 shown]
	v_fma_f64 v[68:69], v[62:63], s[10:11], v[68:69]
	v_fma_f64 v[62:63], v[62:63], s[10:11], v[54:55]
	v_add_f64 v[54:55], v[20:21], v[22:23]
	v_add_f64 v[105:106], v[26:27], v[42:43]
	v_fma_f64 v[6:7], v[64:65], -0.5, v[6:7]
	v_fma_f64 v[64:65], v[76:77], s[10:11], v[74:75]
	v_fma_f64 v[4:5], v[76:77], s[10:11], v[4:5]
	;; [unrolled: 1-line block ×4, first 2 shown]
	v_add_f64 v[76:77], v[82:83], -v[92:93]
	v_add_f64 v[114:115], v[84:85], -v[94:95]
	v_add_f64 v[116:117], v[0:1], v[26:27]
	v_fma_f64 v[54:55], v[54:55], -0.5, v[0:1]
	v_add_f64 v[118:119], v[10:11], -v[2:3]
	v_add_f64 v[120:121], v[18:19], -v[16:17]
	v_fma_f64 v[0:1], v[105:106], -0.5, v[0:1]
	v_fma_f64 v[70:71], v[112:113], s[12:13], v[6:7]
	v_fma_f64 v[60:61], v[112:113], s[14:15], v[60:61]
	v_add_f64 v[76:77], v[76:77], v[114:115]
	v_fma_f64 v[6:7], v[112:113], s[6:7], v[6:7]
	v_add_f64 v[105:106], v[116:117], v[20:21]
	v_fma_f64 v[112:113], v[118:119], s[6:7], v[54:55]
	v_add_f64 v[114:115], v[26:27], -v[20:21]
	v_add_f64 v[116:117], v[42:43], -v[22:23]
	v_fma_f64 v[54:55], v[118:119], s[12:13], v[54:55]
	v_fma_f64 v[122:123], v[120:121], s[12:13], v[0:1]
	v_add_f64 v[124:125], v[20:21], -v[26:27]
	v_add_f64 v[126:127], v[22:23], -v[42:43]
	v_fma_f64 v[0:1], v[120:121], s[6:7], v[0:1]
	v_fma_f64 v[70:71], v[72:73], s[4:5], v[70:71]
	;; [unrolled: 1-line block ×3, first 2 shown]
	v_add_f64 v[72:73], v[105:106], v[22:23]
	v_fma_f64 v[105:106], v[120:121], s[4:5], v[112:113]
	v_add_f64 v[112:113], v[114:115], v[116:117]
	v_fma_f64 v[54:55], v[120:121], s[14:15], v[54:55]
	v_fma_f64 v[114:115], v[118:119], s[4:5], v[122:123]
	v_add_f64 v[116:117], v[124:125], v[126:127]
	v_fma_f64 v[0:1], v[118:119], s[14:15], v[0:1]
	v_add_f64 v[46:47], v[46:47], v[94:95]
	v_fma_f64 v[70:71], v[76:77], s[10:11], v[70:71]
	v_fma_f64 v[6:7], v[76:77], s[10:11], v[6:7]
	v_add_f64 v[72:73], v[72:73], v[42:43]
	v_fma_f64 v[76:77], v[112:113], s[10:11], v[105:106]
	v_fma_f64 v[105:106], v[112:113], s[10:11], v[54:55]
	;; [unrolled: 1-line block ×5, first 2 shown]
	v_mov_b32_e32 v60, 3
	v_mul_u32_u24_e32 v54, 0x3e8, v107
	v_lshlrev_b32_sdwa v55, v60, v186 dst_sel:DWORD dst_unused:UNUSED_PAD src0_sel:DWORD src1_sel:BYTE_0
	v_add3_u32 v55, 0, v54, v55
	ds_write2_b64 v55, v[66:67], v[68:69] offset1:25
	ds_write2_b64 v55, v[64:65], v[4:5] offset0:50 offset1:75
	ds_write_b64 v55, v[62:63] offset:800
	v_mul_u32_u24_e32 v4, 0x3e8, v187
	v_lshlrev_b32_sdwa v5, v60, v188 dst_sel:DWORD dst_unused:UNUSED_PAD src0_sel:DWORD src1_sel:BYTE_0
	v_add3_u32 v60, 0, v4, v5
	v_mul_u32_u24_e32 v4, 0x3e8, v189
	v_lshlrev_b32_e32 v5, 3, v190
	v_add3_u32 v61, 0, v4, v5
	v_lshl_add_u32 v54, v131, 3, 0
	ds_write2_b64 v60, v[46:47], v[74:75] offset1:25
	ds_write2_b64 v60, v[70:71], v[6:7] offset0:50 offset1:75
	ds_write_b64 v60, v[78:79] offset:800
	ds_write2_b64 v61, v[72:73], v[76:77] offset1:25
	ds_write2_b64 v61, v[112:113], v[0:1] offset0:50 offset1:75
	ds_write_b64 v61, v[105:106] offset:800
	s_and_saveexec_b64 s[16:17], vcc
	s_cbranch_execz .LBB0_31
; %bb.30:
	v_add_f64 v[4:5], v[36:37], v[38:39]
	v_add_f64 v[0:1], v[40:41], v[44:45]
	v_add_f64 v[6:7], v[30:31], -v[28:29]
	v_add_f64 v[62:63], v[58:59], v[40:41]
	v_add_f64 v[46:47], v[32:33], -v[34:35]
	v_add_f64 v[64:65], v[38:39], -v[44:45]
	;; [unrolled: 1-line block ×4, first 2 shown]
	v_fma_f64 v[4:5], v[4:5], -0.5, v[58:59]
	v_fma_f64 v[0:1], v[0:1], -0.5, v[58:59]
	v_add_f64 v[58:59], v[36:37], -v[40:41]
	v_add_f64 v[62:63], v[62:63], v[36:37]
	v_fma_f64 v[72:73], v[6:7], s[6:7], v[4:5]
	v_fma_f64 v[70:71], v[46:47], s[6:7], v[0:1]
	;; [unrolled: 1-line block ×4, first 2 shown]
	v_add_f64 v[58:59], v[58:59], v[64:65]
	v_add_f64 v[64:65], v[66:67], v[68:69]
	;; [unrolled: 1-line block ×3, first 2 shown]
	v_fma_f64 v[68:69], v[46:47], s[4:5], v[72:73]
	v_fma_f64 v[66:67], v[6:7], s[14:15], v[70:71]
	;; [unrolled: 1-line block ×4, first 2 shown]
	v_add_f64 v[6:7], v[62:63], v[44:45]
	v_fma_f64 v[62:63], v[64:65], s[10:11], v[68:69]
	v_fma_f64 v[46:47], v[58:59], s[10:11], v[66:67]
	;; [unrolled: 1-line block ×4, first 2 shown]
	v_add_u32_e32 v58, 0x3800, v54
	ds_write2_b64 v58, v[6:7], v[62:63] offset0:83 offset1:108
	ds_write2_b64 v58, v[0:1], v[46:47] offset0:133 offset1:158
	ds_write_b64 v54, v[4:5] offset:15800
.LBB0_31:
	s_or_b64 exec, exec, s[16:17]
	v_add_f64 v[0:1], v[12:13], v[88:89]
	v_add_f64 v[4:5], v[90:91], v[86:87]
	v_add_f64 v[6:7], v[96:97], -v[102:103]
	v_add_f64 v[62:63], v[88:89], v[80:81]
	v_add_f64 v[66:67], v[50:51], v[24:25]
	v_add_f64 v[46:47], v[98:99], -v[100:101]
	v_add_f64 v[58:59], v[88:89], -v[90:91]
	;; [unrolled: 1-line block ×3, first 2 shown]
	v_add_f64 v[0:1], v[0:1], v[90:91]
	v_fma_f64 v[4:5], v[4:5], -0.5, v[12:13]
	v_add_f64 v[70:71], v[14:15], v[52:53]
	v_fma_f64 v[12:13], v[62:63], -0.5, v[12:13]
	v_add_f64 v[62:63], v[92:93], -v[94:95]
	v_fma_f64 v[66:67], v[66:67], -0.5, v[14:15]
	v_add_f64 v[78:79], v[82:83], -v[84:85]
	v_add_f64 v[58:59], v[58:59], v[64:65]
	v_add_f64 v[0:1], v[0:1], v[86:87]
	v_fma_f64 v[74:75], v[6:7], s[12:13], v[4:5]
	v_fma_f64 v[4:5], v[6:7], s[6:7], v[4:5]
	v_add_f64 v[64:65], v[70:71], v[50:51]
	v_fma_f64 v[70:71], v[46:47], s[6:7], v[12:13]
	v_fma_f64 v[12:13], v[46:47], s[12:13], v[12:13]
	v_add_f64 v[68:69], v[90:91], -v[88:89]
	v_add_f64 v[72:73], v[86:87], -v[80:81]
	v_add_f64 v[76:77], v[0:1], v[80:81]
	v_fma_f64 v[0:1], v[46:47], s[14:15], v[74:75]
	v_fma_f64 v[74:75], v[62:63], s[12:13], v[66:67]
	;; [unrolled: 1-line block ×3, first 2 shown]
	v_add_f64 v[46:47], v[52:53], v[48:49]
	v_add_f64 v[80:81], v[52:53], -v[50:51]
	v_add_f64 v[82:83], v[48:49], -v[24:25]
	v_fma_f64 v[70:71], v[6:7], s[14:15], v[70:71]
	v_fma_f64 v[6:7], v[6:7], s[4:5], v[12:13]
	v_add_f64 v[12:13], v[64:65], v[24:25]
	v_fma_f64 v[64:65], v[78:79], s[14:15], v[74:75]
	v_fma_f64 v[74:75], v[58:59], s[10:11], v[0:1]
	;; [unrolled: 1-line block ×3, first 2 shown]
	v_add_f64 v[4:5], v[18:19], v[16:17]
	v_fma_f64 v[0:1], v[46:47], -0.5, v[14:15]
	v_add_f64 v[46:47], v[10:11], v[2:3]
	v_add_f64 v[68:69], v[68:69], v[72:73]
	;; [unrolled: 1-line block ×4, first 2 shown]
	v_add_f64 v[14:15], v[50:51], -v[52:53]
	v_add_f64 v[24:25], v[24:25], -v[48:49]
	v_add_f64 v[48:49], v[8:9], v[10:11]
	v_fma_f64 v[4:5], v[4:5], -0.5, v[8:9]
	v_add_f64 v[26:27], v[26:27], -v[42:43]
	v_add_f64 v[20:21], v[20:21], -v[22:23]
	v_fma_f64 v[8:9], v[46:47], -0.5, v[8:9]
	v_fma_f64 v[70:71], v[68:69], s[10:11], v[70:71]
	v_fma_f64 v[68:69], v[68:69], s[10:11], v[6:7]
	;; [unrolled: 1-line block ×3, first 2 shown]
	v_add_f64 v[14:15], v[14:15], v[24:25]
	v_add_f64 v[22:23], v[48:49], v[18:19]
	v_fma_f64 v[24:25], v[26:27], s[12:13], v[4:5]
	v_add_f64 v[42:43], v[10:11], -v[18:19]
	v_add_f64 v[46:47], v[2:3], -v[16:17]
	v_fma_f64 v[4:5], v[26:27], s[6:7], v[4:5]
	v_fma_f64 v[12:13], v[78:79], s[6:7], v[0:1]
	;; [unrolled: 1-line block ×3, first 2 shown]
	v_add_f64 v[10:11], v[18:19], -v[10:11]
	v_add_f64 v[18:19], v[16:17], -v[2:3]
	v_fma_f64 v[8:9], v[20:21], s[12:13], v[8:9]
	v_fma_f64 v[0:1], v[78:79], s[12:13], v[0:1]
	v_fma_f64 v[6:7], v[78:79], s[4:5], v[6:7]
	v_add_f64 v[16:17], v[22:23], v[16:17]
	v_fma_f64 v[22:23], v[20:21], s[14:15], v[24:25]
	v_add_f64 v[24:25], v[42:43], v[46:47]
	v_fma_f64 v[4:5], v[20:21], s[4:5], v[4:5]
	v_fma_f64 v[12:13], v[62:63], s[14:15], v[12:13]
	;; [unrolled: 1-line block ×3, first 2 shown]
	v_add_f64 v[10:11], v[10:11], v[18:19]
	v_fma_f64 v[8:9], v[26:27], s[4:5], v[8:9]
	v_fma_f64 v[0:1], v[62:63], s[4:5], v[0:1]
	v_fma_f64 v[64:65], v[72:73], s[10:11], v[64:65]
	v_fma_f64 v[48:49], v[72:73], s[10:11], v[6:7]
	v_fma_f64 v[72:73], v[24:25], s[10:11], v[4:5]
	v_add_u32_e32 v4, 0x7c0, v128
	v_add_f64 v[62:63], v[16:17], v[2:3]
	s_waitcnt lgkmcnt(0)
	s_barrier
	ds_read2_b64 v[16:19], v4 offset0:2 offset1:252
	v_add_u32_e32 v4, 0x1000, v128
	v_fma_f64 v[50:51], v[14:15], s[10:11], v[12:13]
	v_fma_f64 v[66:67], v[24:25], s[10:11], v[22:23]
	;; [unrolled: 1-line block ×4, first 2 shown]
	ds_read2_b64 v[20:23], v4 offset0:113 offset1:238
	v_add_u32_e32 v4, 0x1800, v128
	v_add_u32_e32 v8, 0x2000, v128
	v_add_u32_e32 v12, 0x2800, v128
	v_add_u32_e32 v24, 0x3000, v128
	v_fma_f64 v[52:53], v[14:15], s[10:11], v[0:1]
	ds_read2_b64 v[0:3], v128 offset1:125
	ds_read2_b64 v[4:7], v4 offset0:107 offset1:232
	ds_read2_b64 v[8:11], v8 offset0:101 offset1:226
	;; [unrolled: 1-line block ×4, first 2 shown]
	ds_read_b64 v[42:43], v104 offset:3000
	ds_read_b64 v[46:47], v128 offset:15000
	s_waitcnt lgkmcnt(0)
	s_barrier
	ds_write2_b64 v55, v[76:77], v[74:75] offset1:25
	ds_write2_b64 v55, v[70:71], v[68:69] offset0:50 offset1:75
	ds_write_b64 v55, v[58:59] offset:800
	ds_write2_b64 v60, v[80:81], v[64:65] offset1:25
	ds_write2_b64 v60, v[50:51], v[52:53] offset0:50 offset1:75
	ds_write_b64 v60, v[48:49] offset:800
	;; [unrolled: 3-line block ×3, first 2 shown]
	s_and_saveexec_b64 s[4:5], vcc
	s_cbranch_execz .LBB0_33
; %bb.32:
	v_add_f64 v[48:49], v[32:33], v[34:35]
	v_add_f64 v[40:41], v[40:41], -v[44:45]
	v_add_f64 v[44:45], v[30:31], v[28:29]
	v_add_f64 v[50:51], v[56:57], v[30:31]
	v_add_f64 v[36:37], v[36:37], -v[38:39]
	s_mov_b32 s6, 0x134454ff
	s_mov_b32 s7, 0x3fee6f0e
	v_add_f64 v[52:53], v[28:29], -v[34:35]
	v_fma_f64 v[38:39], v[48:49], -0.5, v[56:57]
	v_add_f64 v[48:49], v[30:31], -v[32:33]
	v_fma_f64 v[44:45], v[44:45], -0.5, v[56:57]
	s_mov_b32 s13, 0xbfee6f0e
	v_add_f64 v[30:31], v[32:33], -v[30:31]
	v_add_f64 v[32:33], v[50:51], v[32:33]
	s_mov_b32 s12, s6
	v_add_f64 v[55:56], v[34:35], -v[28:29]
	v_fma_f64 v[50:51], v[40:41], s[6:7], v[38:39]
	v_fma_f64 v[38:39], v[40:41], s[12:13], v[38:39]
	;; [unrolled: 1-line block ×4, first 2 shown]
	s_mov_b32 s10, 0x4755a5e
	s_mov_b32 s11, 0x3fe2cf23
	v_add_f64 v[48:49], v[48:49], v[52:53]
	v_add_f64 v[32:33], v[32:33], v[34:35]
	v_fma_f64 v[34:35], v[36:37], s[10:11], v[50:51]
	s_mov_b32 s7, 0xbfe2cf23
	s_mov_b32 s6, s10
	v_fma_f64 v[50:51], v[40:41], s[10:11], v[57:58]
	v_add_f64 v[30:31], v[30:31], v[55:56]
	v_fma_f64 v[40:41], v[40:41], s[6:7], v[44:45]
	v_fma_f64 v[36:37], v[36:37], s[6:7], v[38:39]
	s_mov_b32 s6, 0x372fe950
	s_mov_b32 s7, 0x3fd3c6ef
	v_add_f64 v[28:29], v[32:33], v[28:29]
	v_fma_f64 v[32:33], v[48:49], s[6:7], v[34:35]
	v_add_u32_e32 v38, 0x3800, v54
	v_fma_f64 v[34:35], v[30:31], s[6:7], v[50:51]
	v_fma_f64 v[30:31], v[30:31], s[6:7], v[40:41]
	;; [unrolled: 1-line block ×3, first 2 shown]
	ds_write2_b64 v38, v[28:29], v[32:33] offset0:83 offset1:108
	ds_write2_b64 v38, v[34:35], v[30:31] offset0:133 offset1:158
	ds_write_b64 v54, v[36:37] offset:15800
.LBB0_33:
	s_or_b64 exec, exec, s[4:5]
	s_waitcnt lgkmcnt(0)
	s_barrier
	s_and_saveexec_b64 s[4:5], s[0:1]
	s_cbranch_execz .LBB0_35
; %bb.34:
	v_mul_u32_u24_e32 v28, 15, v111
	v_lshlrev_b32_e32 v40, 4, v28
	global_load_dwordx4 v[28:31], v40, s[8:9] offset:2032
	global_load_dwordx4 v[32:35], v40, s[8:9] offset:1968
	;; [unrolled: 1-line block ×15, first 2 shown]
	ds_read2_b64 v[96:99], v128 offset1:125
	v_add_u32_e32 v100, 0x1800, v128
	v_add_u32_e32 v105, 0x7c0, v128
	;; [unrolled: 1-line block ×6, first 2 shown]
	ds_read_b64 v[40:41], v104 offset:3000
	ds_read_b64 v[44:45], v128 offset:15000
	ds_read2_b64 v[100:103], v100 offset0:107 offset1:232
	ds_read2_b64 v[104:107], v105 offset0:2 offset1:252
	ds_read2_b64 v[111:114], v111 offset0:95 offset1:220
	ds_read2_b64 v[115:118], v115 offset0:101 offset1:226
	ds_read2_b64 v[119:122], v119 offset0:113 offset1:238
	ds_read2_b64 v[123:126], v123 offset0:89 offset1:214
	s_mov_b32 s0, 0x667f3bcd
	s_mov_b32 s1, 0x3fe6a09e
	;; [unrolled: 1-line block ×12, first 2 shown]
	s_movk_i32 s14, 0x1000
	s_movk_i32 s13, 0x2000
	;; [unrolled: 1-line block ×3, first 2 shown]
	s_waitcnt vmcnt(14)
	v_mul_f64 v[127:128], v[6:7], v[30:31]
	s_waitcnt vmcnt(13)
	v_mul_f64 v[129:130], v[18:19], v[32:33]
	s_waitcnt vmcnt(12)
	v_mul_f64 v[131:132], v[14:15], v[36:37]
	s_waitcnt vmcnt(11)
	v_mul_f64 v[133:134], v[16:17], v[50:51]
	s_waitcnt vmcnt(10)
	v_mul_f64 v[135:136], v[10:11], v[54:55]
	s_waitcnt vmcnt(9)
	v_mul_f64 v[137:138], v[22:23], v[56:57]
	s_waitcnt vmcnt(8)
	v_mul_f64 v[139:140], v[26:27], v[60:61]
	s_waitcnt lgkmcnt(4)
	v_mul_f64 v[50:51], v[104:105], v[50:51]
	s_waitcnt lgkmcnt(2)
	v_mul_f64 v[54:55], v[117:118], v[54:55]
	v_mul_f64 v[22:23], v[22:23], v[58:59]
	;; [unrolled: 1-line block ×3, first 2 shown]
	s_waitcnt vmcnt(7)
	v_mul_f64 v[141:142], v[2:3], v[66:67]
	s_waitcnt vmcnt(6)
	v_mul_f64 v[143:144], v[8:9], v[70:71]
	;; [unrolled: 2-line block ×8, first 2 shown]
	v_mul_f64 v[82:83], v[40:41], v[82:83]
	v_mul_f64 v[86:87], v[111:112], v[86:87]
	;; [unrolled: 1-line block ×11, first 2 shown]
	v_fma_f64 v[102:103], v[102:103], v[28:29], -v[127:128]
	v_fma_f64 v[34:35], v[106:107], v[34:35], v[129:130]
	v_fma_f64 v[38:39], v[113:114], v[38:39], v[131:132]
	v_fma_f64 v[104:105], v[104:105], v[48:49], -v[133:134]
	v_fma_f64 v[117:118], v[117:118], v[52:53], -v[135:136]
	s_waitcnt lgkmcnt(1)
	v_fma_f64 v[58:59], v[121:122], v[58:59], v[137:138]
	s_waitcnt lgkmcnt(0)
	v_fma_f64 v[62:63], v[125:126], v[62:63], v[139:140]
	v_fma_f64 v[16:17], v[16:17], v[48:49], v[50:51]
	;; [unrolled: 1-line block ×3, first 2 shown]
	v_fma_f64 v[22:23], v[121:122], v[56:57], -v[22:23]
	v_fma_f64 v[26:27], v[125:126], v[60:61], -v[26:27]
	;; [unrolled: 1-line block ×4, first 2 shown]
	v_fma_f64 v[52:53], v[119:120], v[74:75], v[145:146]
	v_fma_f64 v[54:55], v[123:124], v[78:79], v[147:148]
	v_fma_f64 v[40:41], v[40:41], v[80:81], -v[149:150]
	v_fma_f64 v[56:57], v[111:112], v[84:85], -v[151:152]
	v_fma_f64 v[60:61], v[100:101], v[90:91], v[153:154]
	v_fma_f64 v[74:75], v[44:45], v[94:95], v[155:156]
	;; [unrolled: 1-line block ×4, first 2 shown]
	v_fma_f64 v[4:5], v[100:101], v[88:89], -v[4:5]
	v_fma_f64 v[44:45], v[44:45], v[92:93], -v[46:47]
	v_fma_f64 v[2:3], v[2:3], v[64:65], v[66:67]
	v_fma_f64 v[8:9], v[8:9], v[68:69], v[70:71]
	v_fma_f64 v[20:21], v[119:120], v[72:73], -v[20:21]
	v_fma_f64 v[24:25], v[123:124], v[76:77], -v[24:25]
	;; [unrolled: 1-line block ×4, first 2 shown]
	v_fma_f64 v[6:7], v[6:7], v[28:29], v[30:31]
	v_add_f64 v[28:29], v[96:97], -v[102:103]
	v_add_f64 v[30:31], v[34:35], -v[38:39]
	;; [unrolled: 1-line block ×20, first 2 shown]
	v_add_f64 v[70:71], v[10:11], v[26:27]
	v_add_f64 v[74:75], v[12:13], v[44:45]
	;; [unrolled: 1-line block ×4, first 2 shown]
	v_fma_f64 v[86:87], v[96:97], 2.0, -v[28:29]
	v_fma_f64 v[14:15], v[18:19], 2.0, -v[14:15]
	;; [unrolled: 1-line block ×15, first 2 shown]
	v_fma_f64 v[82:83], v[70:71], s[0:1], v[78:79]
	v_fma_f64 v[44:45], v[104:105], 2.0, -v[32:33]
	v_add_f64 v[30:31], v[86:87], -v[14:15]
	v_add_f64 v[14:15], v[16:17], -v[18:19]
	;; [unrolled: 1-line block ×7, first 2 shown]
	v_fma_f64 v[28:29], v[28:29], 2.0, -v[56:57]
	v_fma_f64 v[0:1], v[32:33], 2.0, -v[62:63]
	;; [unrolled: 1-line block ×8, first 2 shown]
	v_fma_f64 v[68:69], v[62:63], s[0:1], v[56:57]
	v_fma_f64 v[72:73], v[66:67], s[0:1], v[64:65]
	;; [unrolled: 1-line block ×4, first 2 shown]
	v_add_f64 v[22:23], v[44:45], -v[22:23]
	v_fma_f64 v[6:7], v[0:1], s[4:5], v[28:29]
	v_fma_f64 v[8:9], v[4:5], s[4:5], v[32:33]
	;; [unrolled: 1-line block ×7, first 2 shown]
	v_add_f64 v[52:53], v[30:31], -v[14:15]
	v_add_f64 v[54:55], v[34:35], -v[18:19]
	v_add_f64 v[58:59], v[42:43], v[20:21]
	v_add_f64 v[60:61], v[46:47], v[22:23]
	v_fma_f64 v[88:89], v[2:3], s[4:5], v[6:7]
	v_fma_f64 v[90:91], v[10:11], s[4:5], v[8:9]
	;; [unrolled: 1-line block ×8, first 2 shown]
	v_fma_f64 v[22:23], v[44:45], 2.0, -v[22:23]
	v_fma_f64 v[8:9], v[90:91], s[10:11], v[88:89]
	v_fma_f64 v[44:45], v[48:49], 2.0, -v[42:43]
	v_fma_f64 v[12:13], v[92:93], s[10:11], v[62:63]
	v_fma_f64 v[48:49], v[26:27], 2.0, -v[46:47]
	v_fma_f64 v[14:15], v[16:17], 2.0, -v[14:15]
	;; [unrolled: 1-line block ×4, first 2 shown]
	v_fma_f64 v[2:3], v[80:81], s[8:9], v[84:85]
	v_fma_f64 v[0:1], v[72:73], s[10:11], v[66:67]
	;; [unrolled: 1-line block ×4, first 2 shown]
	v_fma_f64 v[66:67], v[86:87], 2.0, -v[30:31]
	v_fma_f64 v[18:19], v[24:25], 2.0, -v[18:19]
	v_fma_f64 v[10:11], v[92:93], s[16:17], v[8:9]
	v_fma_f64 v[8:9], v[90:91], s[6:7], v[12:13]
	v_add_f64 v[74:75], v[48:49], -v[14:15]
	v_add_f64 v[84:85], v[36:37], -v[16:17]
	v_fma_f64 v[14:15], v[68:69], 2.0, -v[2:3]
	v_fma_f64 v[16:17], v[60:61], 2.0, -v[4:5]
	v_add_f64 v[40:41], v[66:67], -v[22:23]
	v_add_f64 v[70:71], v[44:45], -v[18:19]
	v_fma_f64 v[18:19], v[52:53], 2.0, -v[6:7]
	v_fma_f64 v[20:21], v[62:63], 2.0, -v[8:9]
	;; [unrolled: 1-line block ×3, first 2 shown]
	v_add_f64 v[24:25], v[74:75], v[84:85]
	v_fma_f64 v[64:65], v[64:65], 2.0, -v[72:73]
	v_fma_f64 v[68:69], v[76:77], 2.0, -v[80:81]
	;; [unrolled: 1-line block ×12, first 2 shown]
	v_add_f64 v[26:27], v[40:41], -v[70:71]
	v_fma_f64 v[28:29], v[74:75], 2.0, -v[24:25]
	v_fma_f64 v[32:33], v[64:65], s[8:9], v[56:57]
	v_fma_f64 v[38:39], v[68:69], s[8:9], v[72:73]
	;; [unrolled: 1-line block ×6, first 2 shown]
	v_fma_f64 v[66:67], v[66:67], 2.0, -v[40:41]
	v_fma_f64 v[84:85], v[36:37], 2.0, -v[84:85]
	;; [unrolled: 1-line block ×5, first 2 shown]
	v_fma_f64 v[34:35], v[68:69], s[16:17], v[32:33]
	v_fma_f64 v[32:33], v[64:65], s[6:7], v[38:39]
	;; [unrolled: 1-line block ×6, first 2 shown]
	v_add_f64 v[46:47], v[66:67], -v[84:85]
	v_add_f64 v[44:45], v[74:75], -v[44:45]
	v_fma_f64 v[50:51], v[56:57], 2.0, -v[34:35]
	v_fma_f64 v[48:49], v[72:73], 2.0, -v[32:33]
	;; [unrolled: 1-line block ×8, first 2 shown]
	v_mov_b32_e32 v111, 0
	v_mov_b32_e32 v64, s3
	v_add_co_u32_e32 v66, vcc, s2, v108
	v_fma_f64 v[22:23], v[88:89], 2.0, -v[10:11]
	v_addc_co_u32_e32 v67, vcc, v64, v109, vcc
	v_lshlrev_b64 v[64:65], 4, v[110:111]
	s_movk_i32 s0, 0x4000
	v_add_co_u32_e32 v64, vcc, v66, v64
	v_addc_co_u32_e32 v65, vcc, v67, v65, vcc
	global_store_dwordx4 v[64:65], v[60:63], off
	global_store_dwordx4 v[64:65], v[56:59], off offset:2000
	global_store_dwordx4 v[64:65], v[52:55], off offset:4000
	s_nop 0
	v_add_co_u32_e32 v52, vcc, s14, v64
	v_addc_co_u32_e32 v53, vcc, 0, v65, vcc
	global_store_dwordx4 v[52:53], v[48:51], off offset:1904
	global_store_dwordx4 v[52:53], v[28:31], off offset:3904
	s_nop 0
	v_add_co_u32_e32 v28, vcc, s13, v64
	v_addc_co_u32_e32 v29, vcc, 0, v65, vcc
	;; [unrolled: 5-line block ×3, first 2 shown]
	global_store_dwordx4 v[16:17], v[12:15], off offset:1712
	global_store_dwordx4 v[16:17], v[44:47], off offset:3712
	v_add_co_u32_e32 v12, vcc, s0, v64
	v_addc_co_u32_e32 v13, vcc, 0, v65, vcc
	s_movk_i32 s0, 0x5000
	global_store_dwordx4 v[12:13], v[40:43], off offset:1616
	global_store_dwordx4 v[12:13], v[36:39], off offset:3616
	v_add_co_u32_e32 v12, vcc, s0, v64
	v_addc_co_u32_e32 v13, vcc, 0, v65, vcc
	global_store_dwordx4 v[12:13], v[32:35], off offset:1520
	global_store_dwordx4 v[12:13], v[24:27], off offset:3520
	v_add_co_u32_e32 v12, vcc, 0x6000, v64
	v_addc_co_u32_e32 v13, vcc, 0, v65, vcc
	global_store_dwordx4 v[12:13], v[8:11], off offset:1424
	global_store_dwordx4 v[12:13], v[4:7], off offset:3424
	s_nop 0
	v_add_co_u32_e32 v4, vcc, 0x7000, v64
	v_addc_co_u32_e32 v5, vcc, 0, v65, vcc
	global_store_dwordx4 v[4:5], v[0:3], off offset:1328
.LBB0_35:
	s_endpgm
	.section	.rodata,"a",@progbits
	.p2align	6, 0x0
	.amdhsa_kernel fft_rtc_back_len2000_factors_5_5_5_16_wgs_125_tpt_125_halfLds_dp_ip_CI_unitstride_sbrr_dirReg
		.amdhsa_group_segment_fixed_size 0
		.amdhsa_private_segment_fixed_size 0
		.amdhsa_kernarg_size 88
		.amdhsa_user_sgpr_count 6
		.amdhsa_user_sgpr_private_segment_buffer 1
		.amdhsa_user_sgpr_dispatch_ptr 0
		.amdhsa_user_sgpr_queue_ptr 0
		.amdhsa_user_sgpr_kernarg_segment_ptr 1
		.amdhsa_user_sgpr_dispatch_id 0
		.amdhsa_user_sgpr_flat_scratch_init 0
		.amdhsa_user_sgpr_private_segment_size 0
		.amdhsa_uses_dynamic_stack 0
		.amdhsa_system_sgpr_private_segment_wavefront_offset 0
		.amdhsa_system_sgpr_workgroup_id_x 1
		.amdhsa_system_sgpr_workgroup_id_y 0
		.amdhsa_system_sgpr_workgroup_id_z 0
		.amdhsa_system_sgpr_workgroup_info 0
		.amdhsa_system_vgpr_workitem_id 0
		.amdhsa_next_free_vgpr 202
		.amdhsa_next_free_sgpr 22
		.amdhsa_reserve_vcc 1
		.amdhsa_reserve_flat_scratch 0
		.amdhsa_float_round_mode_32 0
		.amdhsa_float_round_mode_16_64 0
		.amdhsa_float_denorm_mode_32 3
		.amdhsa_float_denorm_mode_16_64 3
		.amdhsa_dx10_clamp 1
		.amdhsa_ieee_mode 1
		.amdhsa_fp16_overflow 0
		.amdhsa_exception_fp_ieee_invalid_op 0
		.amdhsa_exception_fp_denorm_src 0
		.amdhsa_exception_fp_ieee_div_zero 0
		.amdhsa_exception_fp_ieee_overflow 0
		.amdhsa_exception_fp_ieee_underflow 0
		.amdhsa_exception_fp_ieee_inexact 0
		.amdhsa_exception_int_div_zero 0
	.end_amdhsa_kernel
	.text
.Lfunc_end0:
	.size	fft_rtc_back_len2000_factors_5_5_5_16_wgs_125_tpt_125_halfLds_dp_ip_CI_unitstride_sbrr_dirReg, .Lfunc_end0-fft_rtc_back_len2000_factors_5_5_5_16_wgs_125_tpt_125_halfLds_dp_ip_CI_unitstride_sbrr_dirReg
                                        ; -- End function
	.section	.AMDGPU.csdata,"",@progbits
; Kernel info:
; codeLenInByte = 13056
; NumSgprs: 26
; NumVgprs: 202
; ScratchSize: 0
; MemoryBound: 1
; FloatMode: 240
; IeeeMode: 1
; LDSByteSize: 0 bytes/workgroup (compile time only)
; SGPRBlocks: 3
; VGPRBlocks: 50
; NumSGPRsForWavesPerEU: 26
; NumVGPRsForWavesPerEU: 202
; Occupancy: 1
; WaveLimiterHint : 1
; COMPUTE_PGM_RSRC2:SCRATCH_EN: 0
; COMPUTE_PGM_RSRC2:USER_SGPR: 6
; COMPUTE_PGM_RSRC2:TRAP_HANDLER: 0
; COMPUTE_PGM_RSRC2:TGID_X_EN: 1
; COMPUTE_PGM_RSRC2:TGID_Y_EN: 0
; COMPUTE_PGM_RSRC2:TGID_Z_EN: 0
; COMPUTE_PGM_RSRC2:TIDIG_COMP_CNT: 0
	.type	__hip_cuid_fe2139e29edd69e0,@object ; @__hip_cuid_fe2139e29edd69e0
	.section	.bss,"aw",@nobits
	.globl	__hip_cuid_fe2139e29edd69e0
__hip_cuid_fe2139e29edd69e0:
	.byte	0                               ; 0x0
	.size	__hip_cuid_fe2139e29edd69e0, 1

	.ident	"AMD clang version 19.0.0git (https://github.com/RadeonOpenCompute/llvm-project roc-6.4.0 25133 c7fe45cf4b819c5991fe208aaa96edf142730f1d)"
	.section	".note.GNU-stack","",@progbits
	.addrsig
	.addrsig_sym __hip_cuid_fe2139e29edd69e0
	.amdgpu_metadata
---
amdhsa.kernels:
  - .args:
      - .actual_access:  read_only
        .address_space:  global
        .offset:         0
        .size:           8
        .value_kind:     global_buffer
      - .offset:         8
        .size:           8
        .value_kind:     by_value
      - .actual_access:  read_only
        .address_space:  global
        .offset:         16
        .size:           8
        .value_kind:     global_buffer
      - .actual_access:  read_only
        .address_space:  global
        .offset:         24
        .size:           8
        .value_kind:     global_buffer
      - .offset:         32
        .size:           8
        .value_kind:     by_value
      - .actual_access:  read_only
        .address_space:  global
        .offset:         40
        .size:           8
        .value_kind:     global_buffer
      - .actual_access:  read_only
        .address_space:  global
        .offset:         48
        .size:           8
        .value_kind:     global_buffer
      - .offset:         56
        .size:           4
        .value_kind:     by_value
      - .actual_access:  read_only
        .address_space:  global
        .offset:         64
        .size:           8
        .value_kind:     global_buffer
      - .actual_access:  read_only
        .address_space:  global
        .offset:         72
        .size:           8
        .value_kind:     global_buffer
      - .address_space:  global
        .offset:         80
        .size:           8
        .value_kind:     global_buffer
    .group_segment_fixed_size: 0
    .kernarg_segment_align: 8
    .kernarg_segment_size: 88
    .language:       OpenCL C
    .language_version:
      - 2
      - 0
    .max_flat_workgroup_size: 125
    .name:           fft_rtc_back_len2000_factors_5_5_5_16_wgs_125_tpt_125_halfLds_dp_ip_CI_unitstride_sbrr_dirReg
    .private_segment_fixed_size: 0
    .sgpr_count:     26
    .sgpr_spill_count: 0
    .symbol:         fft_rtc_back_len2000_factors_5_5_5_16_wgs_125_tpt_125_halfLds_dp_ip_CI_unitstride_sbrr_dirReg.kd
    .uniform_work_group_size: 1
    .uses_dynamic_stack: false
    .vgpr_count:     202
    .vgpr_spill_count: 0
    .wavefront_size: 64
amdhsa.target:   amdgcn-amd-amdhsa--gfx906
amdhsa.version:
  - 1
  - 2
...

	.end_amdgpu_metadata
